;; amdgpu-corpus repo=ROCm/composable_kernel kind=compiled arch=gfx1100 opt=O3
	.text
	.amdgcn_target "amdgcn-amd-amdhsa--gfx1100"
	.amdhsa_code_object_version 6
	.section	.text._ZN2ckL12flush_icacheEv,"axG",@progbits,_ZN2ckL12flush_icacheEv,comdat
	.globl	_ZN2ckL12flush_icacheEv         ; -- Begin function _ZN2ckL12flush_icacheEv
	.p2align	8
	.type	_ZN2ckL12flush_icacheEv,@function
_ZN2ckL12flush_icacheEv:                ; @_ZN2ckL12flush_icacheEv
; %bb.0:
	;;#ASMSTART
	s_icache_inv 
	s_nop 0 
	s_nop 0 
	;; [unrolled: 1-line block ×16, first 2 shown]
	
	;;#ASMEND
	s_endpgm
	.section	.rodata,"a",@progbits
	.p2align	6, 0x0
	.amdhsa_kernel _ZN2ckL12flush_icacheEv
		.amdhsa_group_segment_fixed_size 0
		.amdhsa_private_segment_fixed_size 0
		.amdhsa_kernarg_size 0
		.amdhsa_user_sgpr_count 15
		.amdhsa_user_sgpr_dispatch_ptr 0
		.amdhsa_user_sgpr_queue_ptr 0
		.amdhsa_user_sgpr_kernarg_segment_ptr 0
		.amdhsa_user_sgpr_dispatch_id 0
		.amdhsa_user_sgpr_private_segment_size 0
		.amdhsa_wavefront_size32 1
		.amdhsa_uses_dynamic_stack 0
		.amdhsa_enable_private_segment 0
		.amdhsa_system_sgpr_workgroup_id_x 1
		.amdhsa_system_sgpr_workgroup_id_y 0
		.amdhsa_system_sgpr_workgroup_id_z 0
		.amdhsa_system_sgpr_workgroup_info 0
		.amdhsa_system_vgpr_workitem_id 0
		.amdhsa_next_free_vgpr 1
		.amdhsa_next_free_sgpr 1
		.amdhsa_reserve_vcc 0
		.amdhsa_float_round_mode_32 0
		.amdhsa_float_round_mode_16_64 0
		.amdhsa_float_denorm_mode_32 3
		.amdhsa_float_denorm_mode_16_64 3
		.amdhsa_dx10_clamp 1
		.amdhsa_ieee_mode 1
		.amdhsa_fp16_overflow 0
		.amdhsa_workgroup_processor_mode 1
		.amdhsa_memory_ordered 1
		.amdhsa_forward_progress 0
		.amdhsa_shared_vgpr_count 0
		.amdhsa_exception_fp_ieee_invalid_op 0
		.amdhsa_exception_fp_denorm_src 0
		.amdhsa_exception_fp_ieee_div_zero 0
		.amdhsa_exception_fp_ieee_overflow 0
		.amdhsa_exception_fp_ieee_underflow 0
		.amdhsa_exception_fp_ieee_inexact 0
		.amdhsa_exception_int_div_zero 0
	.end_amdhsa_kernel
	.section	.text._ZN2ckL12flush_icacheEv,"axG",@progbits,_ZN2ckL12flush_icacheEv,comdat
.Lfunc_end0:
	.size	_ZN2ckL12flush_icacheEv, .Lfunc_end0-_ZN2ckL12flush_icacheEv
                                        ; -- End function
	.section	.AMDGPU.csdata,"",@progbits
; Kernel info:
; codeLenInByte = 344
; NumSgprs: 0
; NumVgprs: 0
; ScratchSize: 0
; MemoryBound: 0
; FloatMode: 240
; IeeeMode: 1
; LDSByteSize: 0 bytes/workgroup (compile time only)
; SGPRBlocks: 0
; VGPRBlocks: 0
; NumSGPRsForWavesPerEU: 1
; NumVGPRsForWavesPerEU: 1
; Occupancy: 16
; WaveLimiterHint : 0
; COMPUTE_PGM_RSRC2:SCRATCH_EN: 0
; COMPUTE_PGM_RSRC2:USER_SGPR: 15
; COMPUTE_PGM_RSRC2:TRAP_HANDLER: 0
; COMPUTE_PGM_RSRC2:TGID_X_EN: 1
; COMPUTE_PGM_RSRC2:TGID_Y_EN: 0
; COMPUTE_PGM_RSRC2:TGID_Z_EN: 0
; COMPUTE_PGM_RSRC2:TIDIG_COMP_CNT: 0
	.section	.text._ZN2ck16tensor_operation6device12_GLOBAL__N_137kernel_grouped_conv_fwd_dl_multiple_dINS_32GridwiseGemmDlMultipleD_km_kn_mnILi256EDF16_fNS_5TupleIJDF16_EEEDF16_NS0_12element_wise11PassThroughES8_NS7_7AddReluELNS_25InMemoryDataOperationEnumE0ENS_16TensorDescriptorINS5_IJNS_5EmbedINS5_IJiiiEEESD_Lb0EEENS_11PassThroughIiEENS_3PadIiiiLb0EEESG_SG_NSC_INS5_IJiiEEESJ_Lb0EEESG_NS_23Merge_v2_magic_divisionISJ_EESM_NS_8RightPadIiiLb0EEESO_NS_7UnMergeISJ_Lb0EEESG_EEENS5_IJNS_8SequenceIJLi0EEEENSS_IJLi1EEEENSS_IJLi2EEEENSS_IJLi3EEEENSS_IJLi4EEEENSS_IJLi5EEEENSS_IJLi6EEEENSS_IJLi7ELi9EEEENSS_IJLi8ELi10EEEENSS_IJLi11EEEENSS_IJLi12EEEENSS_IJLi14EEEENSS_IJLi13EEEEEEENS5_IJNSS_IJLi1ELi2ELi3EEEESX_SY_SZ_NSS_IJLi7EEEENSS_IJLi8ELi9EEEENSS_IJLi10EEEES12_S13_S15_S14_NSS_IJLi15ELi16EEEENSS_IJLi17EEEEEEENSS_IJLi15ELi17ELi16EEEElEENSB_INS5_IJSQ_SO_SO_SQ_SG_EEENS5_IJST_SU_SV_SX_SW_EEENS5_IJNSS_IJLi1ELi2EEEESW_SX_NSS_IJLi5ELi6EEEES18_EEENSS_IJLi5ELi7ELi6EEEElEENSB_INS5_IJSK_SO_SO_EEENS5_IJST_SU_SV_EEENS5_IJS1I_SW_SX_EEENSS_IJLi3ELi4EEEElEELi128ELi128ELi16ELi2ELi4ELi4ELi1ENSS_IJLi8ELi2EEEES1S_NSS_IJLi8ELi1ELi1ELi2EEEENSS_IJLi2ELi1ELi128ELi1EEEENSS_IJLi1ELi2ELi0ELi3EEEES1V_NSS_IJLi4ELi1ELi1ELi2EEEES1V_NSS_IJLi1ELi1ELi1ELi2EEEES1T_S1U_S1V_S1V_S1W_S1V_S1X_NSS_IJLi0ELi1ELi2ELi3ELi4ELi5EEEELi5ELi4EEEDF16_NS5_IJPKDF16_EEEDF16_S8_S8_S9_NSB_INS5_IJSE_SG_SI_SG_SG_SK_SG_SM_SM_SO_SO_SQ_SG_SG_NSP_INS5_IJiNS_17integral_constantIiLi128EEEEEELb0EEENSF_INS23_IiLi2EEEEEEEENS5_IJST_SU_SV_SW_SX_SY_SZ_S10_S11_S12_S13_S14_S15_NSS_IJLi15EEEES1C_NSS_IJLi16EEEEEEENS5_IJS17_SX_SY_SZ_S18_S19_S1A_S12_S13_S15_S14_S1B_S1C_NSS_IJLi18EEEENSS_IJLi19ELi20EEEENSS_IJLi21EEEEEEENSS_IJLi18ELi19ELi20ELi21EEEElEENSB_INS5_IJSQ_SO_SO_SQ_SG_SG_S26_S28_EEENS5_IJST_SU_SV_SX_SW_SY_S18_SZ_EEENS5_IJS1I_SW_SX_S1J_S18_NSS_IJLi8EEEENSS_IJLi9ELi10EEEES12_EEENSS_IJLi8ELi9ELi10ELi11EEEElEENS5_IJNSB_INS5_IJSK_SO_SO_NSP_INS5_IJiS27_NS23_IiLi64EEEEEELb0EEES2S_EEENS5_IJST_SU_SV_SW_SX_EEENS5_IJS1I_SW_SX_NSS_IJLi5ELi6ELi7EEEENSS_IJLi8ELi9ELi10EEEEEEENSS_IJLi5ELi6ELi7ELi8ELi9ELi10EEEElEEEEES2Z_NS_31BlockToCTileMap_M00_N00_M01_N01ILi128ELi128ES1R_Lb0EEENS1_30ComputePtrOffsetOfStridedBatchILi1ELi1ELi1EvEELb1ELb1EEEvPKT0_S37_T1_PT2_T3_T4_T5_iT6_T7_T8_T9_T10_T11_,"axG",@progbits,_ZN2ck16tensor_operation6device12_GLOBAL__N_137kernel_grouped_conv_fwd_dl_multiple_dINS_32GridwiseGemmDlMultipleD_km_kn_mnILi256EDF16_fNS_5TupleIJDF16_EEEDF16_NS0_12element_wise11PassThroughES8_NS7_7AddReluELNS_25InMemoryDataOperationEnumE0ENS_16TensorDescriptorINS5_IJNS_5EmbedINS5_IJiiiEEESD_Lb0EEENS_11PassThroughIiEENS_3PadIiiiLb0EEESG_SG_NSC_INS5_IJiiEEESJ_Lb0EEESG_NS_23Merge_v2_magic_divisionISJ_EESM_NS_8RightPadIiiLb0EEESO_NS_7UnMergeISJ_Lb0EEESG_EEENS5_IJNS_8SequenceIJLi0EEEENSS_IJLi1EEEENSS_IJLi2EEEENSS_IJLi3EEEENSS_IJLi4EEEENSS_IJLi5EEEENSS_IJLi6EEEENSS_IJLi7ELi9EEEENSS_IJLi8ELi10EEEENSS_IJLi11EEEENSS_IJLi12EEEENSS_IJLi14EEEENSS_IJLi13EEEEEEENS5_IJNSS_IJLi1ELi2ELi3EEEESX_SY_SZ_NSS_IJLi7EEEENSS_IJLi8ELi9EEEENSS_IJLi10EEEES12_S13_S15_S14_NSS_IJLi15ELi16EEEENSS_IJLi17EEEEEEENSS_IJLi15ELi17ELi16EEEElEENSB_INS5_IJSQ_SO_SO_SQ_SG_EEENS5_IJST_SU_SV_SX_SW_EEENS5_IJNSS_IJLi1ELi2EEEESW_SX_NSS_IJLi5ELi6EEEES18_EEENSS_IJLi5ELi7ELi6EEEElEENSB_INS5_IJSK_SO_SO_EEENS5_IJST_SU_SV_EEENS5_IJS1I_SW_SX_EEENSS_IJLi3ELi4EEEElEELi128ELi128ELi16ELi2ELi4ELi4ELi1ENSS_IJLi8ELi2EEEES1S_NSS_IJLi8ELi1ELi1ELi2EEEENSS_IJLi2ELi1ELi128ELi1EEEENSS_IJLi1ELi2ELi0ELi3EEEES1V_NSS_IJLi4ELi1ELi1ELi2EEEES1V_NSS_IJLi1ELi1ELi1ELi2EEEES1T_S1U_S1V_S1V_S1W_S1V_S1X_NSS_IJLi0ELi1ELi2ELi3ELi4ELi5EEEELi5ELi4EEEDF16_NS5_IJPKDF16_EEEDF16_S8_S8_S9_NSB_INS5_IJSE_SG_SI_SG_SG_SK_SG_SM_SM_SO_SO_SQ_SG_SG_NSP_INS5_IJiNS_17integral_constantIiLi128EEEEEELb0EEENSF_INS23_IiLi2EEEEEEEENS5_IJST_SU_SV_SW_SX_SY_SZ_S10_S11_S12_S13_S14_S15_NSS_IJLi15EEEES1C_NSS_IJLi16EEEEEEENS5_IJS17_SX_SY_SZ_S18_S19_S1A_S12_S13_S15_S14_S1B_S1C_NSS_IJLi18EEEENSS_IJLi19ELi20EEEENSS_IJLi21EEEEEEENSS_IJLi18ELi19ELi20ELi21EEEElEENSB_INS5_IJSQ_SO_SO_SQ_SG_SG_S26_S28_EEENS5_IJST_SU_SV_SX_SW_SY_S18_SZ_EEENS5_IJS1I_SW_SX_S1J_S18_NSS_IJLi8EEEENSS_IJLi9ELi10EEEES12_EEENSS_IJLi8ELi9ELi10ELi11EEEElEENS5_IJNSB_INS5_IJSK_SO_SO_NSP_INS5_IJiS27_NS23_IiLi64EEEEEELb0EEES2S_EEENS5_IJST_SU_SV_SW_SX_EEENS5_IJS1I_SW_SX_NSS_IJLi5ELi6ELi7EEEENSS_IJLi8ELi9ELi10EEEEEEENSS_IJLi5ELi6ELi7ELi8ELi9ELi10EEEElEEEEES2Z_NS_31BlockToCTileMap_M00_N00_M01_N01ILi128ELi128ES1R_Lb0EEENS1_30ComputePtrOffsetOfStridedBatchILi1ELi1ELi1EvEELb1ELb1EEEvPKT0_S37_T1_PT2_T3_T4_T5_iT6_T7_T8_T9_T10_T11_,comdat
	.globl	_ZN2ck16tensor_operation6device12_GLOBAL__N_137kernel_grouped_conv_fwd_dl_multiple_dINS_32GridwiseGemmDlMultipleD_km_kn_mnILi256EDF16_fNS_5TupleIJDF16_EEEDF16_NS0_12element_wise11PassThroughES8_NS7_7AddReluELNS_25InMemoryDataOperationEnumE0ENS_16TensorDescriptorINS5_IJNS_5EmbedINS5_IJiiiEEESD_Lb0EEENS_11PassThroughIiEENS_3PadIiiiLb0EEESG_SG_NSC_INS5_IJiiEEESJ_Lb0EEESG_NS_23Merge_v2_magic_divisionISJ_EESM_NS_8RightPadIiiLb0EEESO_NS_7UnMergeISJ_Lb0EEESG_EEENS5_IJNS_8SequenceIJLi0EEEENSS_IJLi1EEEENSS_IJLi2EEEENSS_IJLi3EEEENSS_IJLi4EEEENSS_IJLi5EEEENSS_IJLi6EEEENSS_IJLi7ELi9EEEENSS_IJLi8ELi10EEEENSS_IJLi11EEEENSS_IJLi12EEEENSS_IJLi14EEEENSS_IJLi13EEEEEEENS5_IJNSS_IJLi1ELi2ELi3EEEESX_SY_SZ_NSS_IJLi7EEEENSS_IJLi8ELi9EEEENSS_IJLi10EEEES12_S13_S15_S14_NSS_IJLi15ELi16EEEENSS_IJLi17EEEEEEENSS_IJLi15ELi17ELi16EEEElEENSB_INS5_IJSQ_SO_SO_SQ_SG_EEENS5_IJST_SU_SV_SX_SW_EEENS5_IJNSS_IJLi1ELi2EEEESW_SX_NSS_IJLi5ELi6EEEES18_EEENSS_IJLi5ELi7ELi6EEEElEENSB_INS5_IJSK_SO_SO_EEENS5_IJST_SU_SV_EEENS5_IJS1I_SW_SX_EEENSS_IJLi3ELi4EEEElEELi128ELi128ELi16ELi2ELi4ELi4ELi1ENSS_IJLi8ELi2EEEES1S_NSS_IJLi8ELi1ELi1ELi2EEEENSS_IJLi2ELi1ELi128ELi1EEEENSS_IJLi1ELi2ELi0ELi3EEEES1V_NSS_IJLi4ELi1ELi1ELi2EEEES1V_NSS_IJLi1ELi1ELi1ELi2EEEES1T_S1U_S1V_S1V_S1W_S1V_S1X_NSS_IJLi0ELi1ELi2ELi3ELi4ELi5EEEELi5ELi4EEEDF16_NS5_IJPKDF16_EEEDF16_S8_S8_S9_NSB_INS5_IJSE_SG_SI_SG_SG_SK_SG_SM_SM_SO_SO_SQ_SG_SG_NSP_INS5_IJiNS_17integral_constantIiLi128EEEEEELb0EEENSF_INS23_IiLi2EEEEEEEENS5_IJST_SU_SV_SW_SX_SY_SZ_S10_S11_S12_S13_S14_S15_NSS_IJLi15EEEES1C_NSS_IJLi16EEEEEEENS5_IJS17_SX_SY_SZ_S18_S19_S1A_S12_S13_S15_S14_S1B_S1C_NSS_IJLi18EEEENSS_IJLi19ELi20EEEENSS_IJLi21EEEEEEENSS_IJLi18ELi19ELi20ELi21EEEElEENSB_INS5_IJSQ_SO_SO_SQ_SG_SG_S26_S28_EEENS5_IJST_SU_SV_SX_SW_SY_S18_SZ_EEENS5_IJS1I_SW_SX_S1J_S18_NSS_IJLi8EEEENSS_IJLi9ELi10EEEES12_EEENSS_IJLi8ELi9ELi10ELi11EEEElEENS5_IJNSB_INS5_IJSK_SO_SO_NSP_INS5_IJiS27_NS23_IiLi64EEEEEELb0EEES2S_EEENS5_IJST_SU_SV_SW_SX_EEENS5_IJS1I_SW_SX_NSS_IJLi5ELi6ELi7EEEENSS_IJLi8ELi9ELi10EEEEEEENSS_IJLi5ELi6ELi7ELi8ELi9ELi10EEEElEEEEES2Z_NS_31BlockToCTileMap_M00_N00_M01_N01ILi128ELi128ES1R_Lb0EEENS1_30ComputePtrOffsetOfStridedBatchILi1ELi1ELi1EvEELb1ELb1EEEvPKT0_S37_T1_PT2_T3_T4_T5_iT6_T7_T8_T9_T10_T11_ ; -- Begin function _ZN2ck16tensor_operation6device12_GLOBAL__N_137kernel_grouped_conv_fwd_dl_multiple_dINS_32GridwiseGemmDlMultipleD_km_kn_mnILi256EDF16_fNS_5TupleIJDF16_EEEDF16_NS0_12element_wise11PassThroughES8_NS7_7AddReluELNS_25InMemoryDataOperationEnumE0ENS_16TensorDescriptorINS5_IJNS_5EmbedINS5_IJiiiEEESD_Lb0EEENS_11PassThroughIiEENS_3PadIiiiLb0EEESG_SG_NSC_INS5_IJiiEEESJ_Lb0EEESG_NS_23Merge_v2_magic_divisionISJ_EESM_NS_8RightPadIiiLb0EEESO_NS_7UnMergeISJ_Lb0EEESG_EEENS5_IJNS_8SequenceIJLi0EEEENSS_IJLi1EEEENSS_IJLi2EEEENSS_IJLi3EEEENSS_IJLi4EEEENSS_IJLi5EEEENSS_IJLi6EEEENSS_IJLi7ELi9EEEENSS_IJLi8ELi10EEEENSS_IJLi11EEEENSS_IJLi12EEEENSS_IJLi14EEEENSS_IJLi13EEEEEEENS5_IJNSS_IJLi1ELi2ELi3EEEESX_SY_SZ_NSS_IJLi7EEEENSS_IJLi8ELi9EEEENSS_IJLi10EEEES12_S13_S15_S14_NSS_IJLi15ELi16EEEENSS_IJLi17EEEEEEENSS_IJLi15ELi17ELi16EEEElEENSB_INS5_IJSQ_SO_SO_SQ_SG_EEENS5_IJST_SU_SV_SX_SW_EEENS5_IJNSS_IJLi1ELi2EEEESW_SX_NSS_IJLi5ELi6EEEES18_EEENSS_IJLi5ELi7ELi6EEEElEENSB_INS5_IJSK_SO_SO_EEENS5_IJST_SU_SV_EEENS5_IJS1I_SW_SX_EEENSS_IJLi3ELi4EEEElEELi128ELi128ELi16ELi2ELi4ELi4ELi1ENSS_IJLi8ELi2EEEES1S_NSS_IJLi8ELi1ELi1ELi2EEEENSS_IJLi2ELi1ELi128ELi1EEEENSS_IJLi1ELi2ELi0ELi3EEEES1V_NSS_IJLi4ELi1ELi1ELi2EEEES1V_NSS_IJLi1ELi1ELi1ELi2EEEES1T_S1U_S1V_S1V_S1W_S1V_S1X_NSS_IJLi0ELi1ELi2ELi3ELi4ELi5EEEELi5ELi4EEEDF16_NS5_IJPKDF16_EEEDF16_S8_S8_S9_NSB_INS5_IJSE_SG_SI_SG_SG_SK_SG_SM_SM_SO_SO_SQ_SG_SG_NSP_INS5_IJiNS_17integral_constantIiLi128EEEEEELb0EEENSF_INS23_IiLi2EEEEEEEENS5_IJST_SU_SV_SW_SX_SY_SZ_S10_S11_S12_S13_S14_S15_NSS_IJLi15EEEES1C_NSS_IJLi16EEEEEEENS5_IJS17_SX_SY_SZ_S18_S19_S1A_S12_S13_S15_S14_S1B_S1C_NSS_IJLi18EEEENSS_IJLi19ELi20EEEENSS_IJLi21EEEEEEENSS_IJLi18ELi19ELi20ELi21EEEElEENSB_INS5_IJSQ_SO_SO_SQ_SG_SG_S26_S28_EEENS5_IJST_SU_SV_SX_SW_SY_S18_SZ_EEENS5_IJS1I_SW_SX_S1J_S18_NSS_IJLi8EEEENSS_IJLi9ELi10EEEES12_EEENSS_IJLi8ELi9ELi10ELi11EEEElEENS5_IJNSB_INS5_IJSK_SO_SO_NSP_INS5_IJiS27_NS23_IiLi64EEEEEELb0EEES2S_EEENS5_IJST_SU_SV_SW_SX_EEENS5_IJS1I_SW_SX_NSS_IJLi5ELi6ELi7EEEENSS_IJLi8ELi9ELi10EEEEEEENSS_IJLi5ELi6ELi7ELi8ELi9ELi10EEEElEEEEES2Z_NS_31BlockToCTileMap_M00_N00_M01_N01ILi128ELi128ES1R_Lb0EEENS1_30ComputePtrOffsetOfStridedBatchILi1ELi1ELi1EvEELb1ELb1EEEvPKT0_S37_T1_PT2_T3_T4_T5_iT6_T7_T8_T9_T10_T11_
	.p2align	8
	.type	_ZN2ck16tensor_operation6device12_GLOBAL__N_137kernel_grouped_conv_fwd_dl_multiple_dINS_32GridwiseGemmDlMultipleD_km_kn_mnILi256EDF16_fNS_5TupleIJDF16_EEEDF16_NS0_12element_wise11PassThroughES8_NS7_7AddReluELNS_25InMemoryDataOperationEnumE0ENS_16TensorDescriptorINS5_IJNS_5EmbedINS5_IJiiiEEESD_Lb0EEENS_11PassThroughIiEENS_3PadIiiiLb0EEESG_SG_NSC_INS5_IJiiEEESJ_Lb0EEESG_NS_23Merge_v2_magic_divisionISJ_EESM_NS_8RightPadIiiLb0EEESO_NS_7UnMergeISJ_Lb0EEESG_EEENS5_IJNS_8SequenceIJLi0EEEENSS_IJLi1EEEENSS_IJLi2EEEENSS_IJLi3EEEENSS_IJLi4EEEENSS_IJLi5EEEENSS_IJLi6EEEENSS_IJLi7ELi9EEEENSS_IJLi8ELi10EEEENSS_IJLi11EEEENSS_IJLi12EEEENSS_IJLi14EEEENSS_IJLi13EEEEEEENS5_IJNSS_IJLi1ELi2ELi3EEEESX_SY_SZ_NSS_IJLi7EEEENSS_IJLi8ELi9EEEENSS_IJLi10EEEES12_S13_S15_S14_NSS_IJLi15ELi16EEEENSS_IJLi17EEEEEEENSS_IJLi15ELi17ELi16EEEElEENSB_INS5_IJSQ_SO_SO_SQ_SG_EEENS5_IJST_SU_SV_SX_SW_EEENS5_IJNSS_IJLi1ELi2EEEESW_SX_NSS_IJLi5ELi6EEEES18_EEENSS_IJLi5ELi7ELi6EEEElEENSB_INS5_IJSK_SO_SO_EEENS5_IJST_SU_SV_EEENS5_IJS1I_SW_SX_EEENSS_IJLi3ELi4EEEElEELi128ELi128ELi16ELi2ELi4ELi4ELi1ENSS_IJLi8ELi2EEEES1S_NSS_IJLi8ELi1ELi1ELi2EEEENSS_IJLi2ELi1ELi128ELi1EEEENSS_IJLi1ELi2ELi0ELi3EEEES1V_NSS_IJLi4ELi1ELi1ELi2EEEES1V_NSS_IJLi1ELi1ELi1ELi2EEEES1T_S1U_S1V_S1V_S1W_S1V_S1X_NSS_IJLi0ELi1ELi2ELi3ELi4ELi5EEEELi5ELi4EEEDF16_NS5_IJPKDF16_EEEDF16_S8_S8_S9_NSB_INS5_IJSE_SG_SI_SG_SG_SK_SG_SM_SM_SO_SO_SQ_SG_SG_NSP_INS5_IJiNS_17integral_constantIiLi128EEEEEELb0EEENSF_INS23_IiLi2EEEEEEEENS5_IJST_SU_SV_SW_SX_SY_SZ_S10_S11_S12_S13_S14_S15_NSS_IJLi15EEEES1C_NSS_IJLi16EEEEEEENS5_IJS17_SX_SY_SZ_S18_S19_S1A_S12_S13_S15_S14_S1B_S1C_NSS_IJLi18EEEENSS_IJLi19ELi20EEEENSS_IJLi21EEEEEEENSS_IJLi18ELi19ELi20ELi21EEEElEENSB_INS5_IJSQ_SO_SO_SQ_SG_SG_S26_S28_EEENS5_IJST_SU_SV_SX_SW_SY_S18_SZ_EEENS5_IJS1I_SW_SX_S1J_S18_NSS_IJLi8EEEENSS_IJLi9ELi10EEEES12_EEENSS_IJLi8ELi9ELi10ELi11EEEElEENS5_IJNSB_INS5_IJSK_SO_SO_NSP_INS5_IJiS27_NS23_IiLi64EEEEEELb0EEES2S_EEENS5_IJST_SU_SV_SW_SX_EEENS5_IJS1I_SW_SX_NSS_IJLi5ELi6ELi7EEEENSS_IJLi8ELi9ELi10EEEEEEENSS_IJLi5ELi6ELi7ELi8ELi9ELi10EEEElEEEEES2Z_NS_31BlockToCTileMap_M00_N00_M01_N01ILi128ELi128ES1R_Lb0EEENS1_30ComputePtrOffsetOfStridedBatchILi1ELi1ELi1EvEELb1ELb1EEEvPKT0_S37_T1_PT2_T3_T4_T5_iT6_T7_T8_T9_T10_T11_,@function
_ZN2ck16tensor_operation6device12_GLOBAL__N_137kernel_grouped_conv_fwd_dl_multiple_dINS_32GridwiseGemmDlMultipleD_km_kn_mnILi256EDF16_fNS_5TupleIJDF16_EEEDF16_NS0_12element_wise11PassThroughES8_NS7_7AddReluELNS_25InMemoryDataOperationEnumE0ENS_16TensorDescriptorINS5_IJNS_5EmbedINS5_IJiiiEEESD_Lb0EEENS_11PassThroughIiEENS_3PadIiiiLb0EEESG_SG_NSC_INS5_IJiiEEESJ_Lb0EEESG_NS_23Merge_v2_magic_divisionISJ_EESM_NS_8RightPadIiiLb0EEESO_NS_7UnMergeISJ_Lb0EEESG_EEENS5_IJNS_8SequenceIJLi0EEEENSS_IJLi1EEEENSS_IJLi2EEEENSS_IJLi3EEEENSS_IJLi4EEEENSS_IJLi5EEEENSS_IJLi6EEEENSS_IJLi7ELi9EEEENSS_IJLi8ELi10EEEENSS_IJLi11EEEENSS_IJLi12EEEENSS_IJLi14EEEENSS_IJLi13EEEEEEENS5_IJNSS_IJLi1ELi2ELi3EEEESX_SY_SZ_NSS_IJLi7EEEENSS_IJLi8ELi9EEEENSS_IJLi10EEEES12_S13_S15_S14_NSS_IJLi15ELi16EEEENSS_IJLi17EEEEEEENSS_IJLi15ELi17ELi16EEEElEENSB_INS5_IJSQ_SO_SO_SQ_SG_EEENS5_IJST_SU_SV_SX_SW_EEENS5_IJNSS_IJLi1ELi2EEEESW_SX_NSS_IJLi5ELi6EEEES18_EEENSS_IJLi5ELi7ELi6EEEElEENSB_INS5_IJSK_SO_SO_EEENS5_IJST_SU_SV_EEENS5_IJS1I_SW_SX_EEENSS_IJLi3ELi4EEEElEELi128ELi128ELi16ELi2ELi4ELi4ELi1ENSS_IJLi8ELi2EEEES1S_NSS_IJLi8ELi1ELi1ELi2EEEENSS_IJLi2ELi1ELi128ELi1EEEENSS_IJLi1ELi2ELi0ELi3EEEES1V_NSS_IJLi4ELi1ELi1ELi2EEEES1V_NSS_IJLi1ELi1ELi1ELi2EEEES1T_S1U_S1V_S1V_S1W_S1V_S1X_NSS_IJLi0ELi1ELi2ELi3ELi4ELi5EEEELi5ELi4EEEDF16_NS5_IJPKDF16_EEEDF16_S8_S8_S9_NSB_INS5_IJSE_SG_SI_SG_SG_SK_SG_SM_SM_SO_SO_SQ_SG_SG_NSP_INS5_IJiNS_17integral_constantIiLi128EEEEEELb0EEENSF_INS23_IiLi2EEEEEEEENS5_IJST_SU_SV_SW_SX_SY_SZ_S10_S11_S12_S13_S14_S15_NSS_IJLi15EEEES1C_NSS_IJLi16EEEEEEENS5_IJS17_SX_SY_SZ_S18_S19_S1A_S12_S13_S15_S14_S1B_S1C_NSS_IJLi18EEEENSS_IJLi19ELi20EEEENSS_IJLi21EEEEEEENSS_IJLi18ELi19ELi20ELi21EEEElEENSB_INS5_IJSQ_SO_SO_SQ_SG_SG_S26_S28_EEENS5_IJST_SU_SV_SX_SW_SY_S18_SZ_EEENS5_IJS1I_SW_SX_S1J_S18_NSS_IJLi8EEEENSS_IJLi9ELi10EEEES12_EEENSS_IJLi8ELi9ELi10ELi11EEEElEENS5_IJNSB_INS5_IJSK_SO_SO_NSP_INS5_IJiS27_NS23_IiLi64EEEEEELb0EEES2S_EEENS5_IJST_SU_SV_SW_SX_EEENS5_IJS1I_SW_SX_NSS_IJLi5ELi6ELi7EEEENSS_IJLi8ELi9ELi10EEEEEEENSS_IJLi5ELi6ELi7ELi8ELi9ELi10EEEElEEEEES2Z_NS_31BlockToCTileMap_M00_N00_M01_N01ILi128ELi128ES1R_Lb0EEENS1_30ComputePtrOffsetOfStridedBatchILi1ELi1ELi1EvEELb1ELb1EEEvPKT0_S37_T1_PT2_T3_T4_T5_iT6_T7_T8_T9_T10_T11_: ; @_ZN2ck16tensor_operation6device12_GLOBAL__N_137kernel_grouped_conv_fwd_dl_multiple_dINS_32GridwiseGemmDlMultipleD_km_kn_mnILi256EDF16_fNS_5TupleIJDF16_EEEDF16_NS0_12element_wise11PassThroughES8_NS7_7AddReluELNS_25InMemoryDataOperationEnumE0ENS_16TensorDescriptorINS5_IJNS_5EmbedINS5_IJiiiEEESD_Lb0EEENS_11PassThroughIiEENS_3PadIiiiLb0EEESG_SG_NSC_INS5_IJiiEEESJ_Lb0EEESG_NS_23Merge_v2_magic_divisionISJ_EESM_NS_8RightPadIiiLb0EEESO_NS_7UnMergeISJ_Lb0EEESG_EEENS5_IJNS_8SequenceIJLi0EEEENSS_IJLi1EEEENSS_IJLi2EEEENSS_IJLi3EEEENSS_IJLi4EEEENSS_IJLi5EEEENSS_IJLi6EEEENSS_IJLi7ELi9EEEENSS_IJLi8ELi10EEEENSS_IJLi11EEEENSS_IJLi12EEEENSS_IJLi14EEEENSS_IJLi13EEEEEEENS5_IJNSS_IJLi1ELi2ELi3EEEESX_SY_SZ_NSS_IJLi7EEEENSS_IJLi8ELi9EEEENSS_IJLi10EEEES12_S13_S15_S14_NSS_IJLi15ELi16EEEENSS_IJLi17EEEEEEENSS_IJLi15ELi17ELi16EEEElEENSB_INS5_IJSQ_SO_SO_SQ_SG_EEENS5_IJST_SU_SV_SX_SW_EEENS5_IJNSS_IJLi1ELi2EEEESW_SX_NSS_IJLi5ELi6EEEES18_EEENSS_IJLi5ELi7ELi6EEEElEENSB_INS5_IJSK_SO_SO_EEENS5_IJST_SU_SV_EEENS5_IJS1I_SW_SX_EEENSS_IJLi3ELi4EEEElEELi128ELi128ELi16ELi2ELi4ELi4ELi1ENSS_IJLi8ELi2EEEES1S_NSS_IJLi8ELi1ELi1ELi2EEEENSS_IJLi2ELi1ELi128ELi1EEEENSS_IJLi1ELi2ELi0ELi3EEEES1V_NSS_IJLi4ELi1ELi1ELi2EEEES1V_NSS_IJLi1ELi1ELi1ELi2EEEES1T_S1U_S1V_S1V_S1W_S1V_S1X_NSS_IJLi0ELi1ELi2ELi3ELi4ELi5EEEELi5ELi4EEEDF16_NS5_IJPKDF16_EEEDF16_S8_S8_S9_NSB_INS5_IJSE_SG_SI_SG_SG_SK_SG_SM_SM_SO_SO_SQ_SG_SG_NSP_INS5_IJiNS_17integral_constantIiLi128EEEEEELb0EEENSF_INS23_IiLi2EEEEEEEENS5_IJST_SU_SV_SW_SX_SY_SZ_S10_S11_S12_S13_S14_S15_NSS_IJLi15EEEES1C_NSS_IJLi16EEEEEEENS5_IJS17_SX_SY_SZ_S18_S19_S1A_S12_S13_S15_S14_S1B_S1C_NSS_IJLi18EEEENSS_IJLi19ELi20EEEENSS_IJLi21EEEEEEENSS_IJLi18ELi19ELi20ELi21EEEElEENSB_INS5_IJSQ_SO_SO_SQ_SG_SG_S26_S28_EEENS5_IJST_SU_SV_SX_SW_SY_S18_SZ_EEENS5_IJS1I_SW_SX_S1J_S18_NSS_IJLi8EEEENSS_IJLi9ELi10EEEES12_EEENSS_IJLi8ELi9ELi10ELi11EEEElEENS5_IJNSB_INS5_IJSK_SO_SO_NSP_INS5_IJiS27_NS23_IiLi64EEEEEELb0EEES2S_EEENS5_IJST_SU_SV_SW_SX_EEENS5_IJS1I_SW_SX_NSS_IJLi5ELi6ELi7EEEENSS_IJLi8ELi9ELi10EEEEEEENSS_IJLi5ELi6ELi7ELi8ELi9ELi10EEEElEEEEES2Z_NS_31BlockToCTileMap_M00_N00_M01_N01ILi128ELi128ES1R_Lb0EEENS1_30ComputePtrOffsetOfStridedBatchILi1ELi1ELi1EvEELb1ELb1EEEvPKT0_S37_T1_PT2_T3_T4_T5_iT6_T7_T8_T9_T10_T11_
; %bb.0:
	s_clause 0x2
	s_load_b32 s2, s[0:1], 0x24
	s_load_b32 s4, s[0:1], 0x288
	s_load_b256 s[20:27], s[0:1], 0x260
	v_lshrrev_b32_e32 v5, 1, v0
	s_mov_b32 s31, 0x31004000
	v_mov_b32_e32 v109, 0
	v_dual_mov_b32 v131, 0 :: v_dual_mov_b32 v100, 0
	v_dual_mov_b32 v101, 0 :: v_dual_mov_b32 v136, 0
	;; [unrolled: 1-line block ×7, first 2 shown]
	s_waitcnt lgkmcnt(0)
	s_abs_i32 s3, s2
	s_abs_i32 s7, s4
	v_cvt_f32_u32_e32 v1, s3
	s_sub_i32 s6, 0, s3
	s_xor_b32 s2, s4, s2
	v_dual_mov_b32 v97, 0 :: v_dual_mov_b32 v142, 0
	s_delay_alu instid0(VALU_DEP_2)
	v_rcp_iflag_f32_e32 v1, v1
	s_ashr_i32 s2, s2, 31
	v_dual_mov_b32 v143, 0 :: v_dual_mov_b32 v114, 0
	v_dual_mov_b32 v115, 0 :: v_dual_mov_b32 v144, 0
	;; [unrolled: 1-line block ×4, first 2 shown]
	s_waitcnt_depctr 0xfff
	v_mul_f32_e32 v1, 0x4f7ffffe, v1
	v_dual_mov_b32 v147, 0 :: v_dual_mov_b32 v116, 0
	v_dual_mov_b32 v117, 0 :: v_dual_mov_b32 v148, 0
	s_delay_alu instid0(VALU_DEP_3) | instskip(SKIP_2) | instid1(VALU_DEP_3)
	v_cvt_u32_f32_e32 v1, v1
	v_dual_mov_b32 v149, 0 :: v_dual_mov_b32 v118, 0
	v_dual_mov_b32 v119, 0 :: v_dual_mov_b32 v150, 0
	v_readfirstlane_b32 s5, v1
	v_dual_mov_b32 v151, 0 :: v_dual_mov_b32 v122, 0
	v_dual_mov_b32 v123, 0 :: v_dual_mov_b32 v152, 0
	s_delay_alu instid0(VALU_DEP_3)
	s_mul_i32 s6, s6, s5
	v_dual_mov_b32 v153, 0 :: v_dual_mov_b32 v120, 0
	s_mul_hi_u32 s6, s5, s6
	v_dual_mov_b32 v121, 0 :: v_dual_mov_b32 v154, 0
	s_add_i32 s5, s5, s6
	v_dual_mov_b32 v155, 0 :: v_dual_mov_b32 v124, 0
	s_mul_hi_u32 s5, s7, s5
	v_dual_mov_b32 v125, 0 :: v_dual_mov_b32 v156, 0
	s_mul_i32 s4, s5, s3
	s_add_i32 s6, s5, 1
	s_sub_i32 s4, s7, s4
	v_dual_mov_b32 v157, 0 :: v_dual_mov_b32 v130, 0
	s_sub_i32 s7, s4, s3
	s_cmp_ge_u32 s4, s3
	v_dual_mov_b32 v129, 0 :: v_dual_mov_b32 v158, 0
	s_cselect_b32 s5, s6, s5
	s_cselect_b32 s4, s7, s4
	s_add_i32 s6, s5, 1
	s_cmp_ge_u32 s4, s3
	v_dual_mov_b32 v159, 0 :: v_dual_mov_b32 v110, 0
	s_cselect_b32 s3, s6, s5
	s_abs_i32 s6, s15
	s_xor_b32 s3, s3, s2
	v_dual_mov_b32 v133, 0 :: v_dual_mov_b32 v134, 0
	s_sub_i32 s2, s3, s2
	v_dual_mov_b32 v113, 0 :: v_dual_mov_b32 v108, 0
	s_abs_i32 s3, s2
	s_xor_b32 s2, s15, s2
	v_cvt_f32_u32_e32 v1, s3
	s_sub_i32 s5, 0, s3
	s_ashr_i32 s2, s2, 31
	s_mov_b32 s54, 0
	s_mov_b32 s55, 0
	v_rcp_iflag_f32_e32 v1, v1
	v_dual_mov_b32 v126, 0 :: v_dual_mov_b32 v107, 0
	v_mov_b32_e32 v128, 0
	v_dual_mov_b32 v106, 0 :: v_dual_mov_b32 v127, 0
	v_dual_mov_b32 v104, 0 :: v_dual_mov_b32 v105, 0
	s_waitcnt_depctr 0xfff
	v_dual_mov_b32 v132, 0 :: v_dual_mul_f32 v1, 0x4f7ffffe, v1
	s_delay_alu instid0(VALU_DEP_1) | instskip(NEXT) | instid1(VALU_DEP_1)
	v_cvt_u32_f32_e32 v1, v1
	v_readfirstlane_b32 s4, v1
	v_lshlrev_b32_e32 v1, 3, v0
	s_delay_alu instid0(VALU_DEP_2) | instskip(NEXT) | instid1(VALU_DEP_1)
	s_mul_i32 s5, s5, s4
	v_and_b32_e32 v4, 8, v1
	s_mul_hi_u32 s5, s4, s5
	s_delay_alu instid0(SALU_CYCLE_1) | instskip(NEXT) | instid1(SALU_CYCLE_1)
	s_add_i32 s4, s4, s5
	s_mul_hi_u32 s4, s6, s4
	s_delay_alu instid0(VALU_DEP_1)
	v_or_b32_e32 v13, 36, v4
	s_mul_i32 s5, s4, s3
	v_or_b32_e32 v12, 32, v4
	s_sub_i32 s5, s6, s5
	s_add_i32 s6, s4, 1
	s_sub_i32 s7, s5, s3
	s_cmp_ge_u32 s5, s3
	s_cselect_b32 s4, s6, s4
	s_cselect_b32 s5, s7, s5
	s_add_i32 s6, s4, 1
	s_cmp_ge_u32 s5, s3
	s_cselect_b32 s3, s6, s4
	s_clause 0x3
	s_load_b128 s[4:7], s[0:1], 0x0
	s_load_b64 s[42:43], s[0:1], 0x18
	s_load_b128 s[16:19], s[0:1], 0x234
	s_load_b128 s[8:11], s[0:1], 0x248
	s_xor_b32 s3, s3, s2
	s_delay_alu instid0(SALU_CYCLE_1) | instskip(NEXT) | instid1(SALU_CYCLE_1)
	s_sub_i32 s49, s3, s2
	s_ashr_i32 s50, s49, 31
	s_mul_hi_u32 s3, s20, s49
	s_mul_i32 s2, s20, s49
	s_mul_i32 s20, s20, s50
	;; [unrolled: 1-line block ×3, first 2 shown]
	s_add_i32 s3, s3, s20
	s_mul_hi_u32 s14, s22, s49
	s_mul_i32 s21, s23, s49
	s_mul_i32 s12, s22, s49
	s_mul_hi_u32 s23, s26, s49
	s_mul_i32 s22, s22, s50
	s_mul_i32 s28, s26, s50
	s_add_i32 s3, s3, s13
	s_mul_i32 s27, s27, s49
	s_add_i32 s14, s14, s22
	s_add_i32 s20, s23, s28
	s_lshl_b64 s[2:3], s[2:3], 1
	s_add_i32 s13, s14, s21
	s_add_i32 s27, s20, s27
	s_waitcnt lgkmcnt(0)
	s_add_u32 s28, s4, s2
	s_addc_u32 s29, s5, s3
	s_lshl_b64 s[2:3], s[12:13], 1
	s_mul_hi_u32 s4, s19, s15
	s_add_u32 s12, s6, s2
	s_addc_u32 s13, s7, s3
	s_add_i32 s2, s15, s4
	s_mul_i32 s26, s26, s49
	s_lshr_b32 s3, s2, s11
	s_delay_alu instid0(SALU_CYCLE_1) | instskip(NEXT) | instid1(SALU_CYCLE_1)
	s_mul_hi_u32 s2, s3, s18
	s_add_i32 s4, s3, s2
	s_load_b32 s2, s[0:1], 0xc4
	s_lshr_b32 s14, s4, s10
	s_clause 0x2
	s_load_b32 s18, s[0:1], 0x204
	s_load_b32 s30, s[0:1], 0x214
	s_load_b128 s[4:7], s[0:1], 0x220
	s_mul_hi_u32 s10, s14, s17
	s_clause 0x5
	s_load_b32 s17, s[0:1], 0x78
	s_load_b32 s33, s[0:1], 0x80
	;; [unrolled: 1-line block ×6, first 2 shown]
	s_add_i32 s10, s14, s10
	s_delay_alu instid0(SALU_CYCLE_1)
	s_lshr_b32 s34, s10, s9
	s_clause 0x5
	s_load_b32 s9, s[0:1], 0xd0
	s_load_b32 s35, s[0:1], 0xe8
	;; [unrolled: 1-line block ×6, first 2 shown]
	s_mul_hi_u32 s16, s34, s16
	s_delay_alu instid0(SALU_CYCLE_1) | instskip(NEXT) | instid1(SALU_CYCLE_1)
	s_add_i32 s16, s34, s16
	s_lshr_b32 s8, s16, s8
	s_waitcnt lgkmcnt(0)
	v_mul_lo_u32 v14, s2, v4
	s_lshl_b32 s53, s2, 2
	s_mul_i32 s8, s8, s4
	s_mul_i32 s4, s14, s6
	s_sub_i32 s6, s34, s8
	s_sub_i32 s46, s3, s4
	s_mul_i32 s6, s6, s18
	s_clause 0x1
	s_load_b64 s[44:45], s[0:1], 0x60
	s_load_b32 s4, s[0:1], 0x70
	s_add_i32 s46, s46, s6
	v_mul_hi_u32 v1, v14, s52
	v_lshl_or_b32 v23, s46, 7, v5
	v_add_nc_u32_e32 v3, s53, v14
	s_mul_i32 s34, s34, s5
	s_mul_i32 s3, s3, s7
	s_sub_i32 s5, s14, s34
	v_mul_hi_u32 v2, v23, s17
	s_sub_i32 s47, s15, s3
	v_add_nc_u32_e32 v1, v14, v1
	s_mul_i32 s5, s5, s30
	s_load_b256 s[16:23], s[0:1], 0x34
	s_add_i32 s47, s47, s5
	s_load_b32 s3, s[0:1], 0x148
	v_lshrrev_b32_e32 v6, s51, v1
	v_add_nc_u32_e32 v2, v23, v2
	v_mul_hi_u32 v1, v3, s52
	v_lshl_or_b32 v44, s47, 7, v5
	v_mul_lo_u32 v22, s10, v4
	v_mul_lo_u32 v7, v6, s11
	v_lshrrev_b32_e32 v8, s33, v2
	s_mov_b32 s15, s31
	s_load_b64 s[38:39], s[0:1], 0x158
	s_waitcnt lgkmcnt(0)
	s_clause 0x1
	s_load_b32 s19, s[0:1], 0x164
	s_load_b32 s33, s[0:1], 0x170
	s_lshl_b32 s30, s35, 1
	v_add_nc_u32_e32 v2, v3, v1
	v_mul_lo_u32 v9, v8, s4
	v_mul_lo_u32 v1, v6, s44
	v_sub_nc_u32_e32 v7, v14, v7
	v_lshlrev_b32_e32 v5, 2, v5
	v_lshrrev_b32_e32 v24, s51, v2
	v_mul_lo_u32 v2, v44, s36
	v_mul_lo_u32 v8, v8, s16
	s_load_b64 s[36:37], s[0:1], 0x1e8
	v_sub_nc_u32_e32 v9, v23, v9
	v_mul_lo_u32 v10, v24, s11
	s_waitcnt lgkmcnt(0)
	s_load_b32 s37, s[0:1], 0xb4
	s_lshl_b32 s14, s3, 1
	v_lshl_or_b32 v164, v4, 9, v5
	v_mad_u64_u32 v[42:43], null, v9, s45, v[1:2]
	v_sub_nc_u32_e32 v1, v24, v6
	v_mul_lo_u32 v6, v7, s18
	v_sub_nc_u32_e32 v25, v3, v10
	s_lshl_b32 s45, s10, 2
	s_sub_i32 s20, s20, s22
	v_mul_lo_u32 v43, v1, s44
	v_subrev_nc_u32_e32 v9, s21, v42
	v_sub_nc_u32_e32 v7, v25, v7
	v_add_nc_u32_e32 v1, v2, v22
	v_cmp_le_i32_e64 s7, s21, v42
	v_cmp_gt_i32_e64 s8, s20, v42
	v_mul_lo_u32 v9, v9, s17
	v_mul_lo_u32 v7, v7, s18
	;; [unrolled: 1-line block ×3, first 2 shown]
	v_lshlrev_b32_e32 v10, 1, v1
	v_add_lshl_u32 v1, v1, s45, 1
	v_add_nc_u32_e32 v167, v42, v43
	s_mul_i32 s56, s2, 12
	s_waitcnt lgkmcnt(0)
	v_cmp_gt_i32_e64 s3, s37, v14
	v_add3_u32 v6, v8, v6, v9
	s_clause 0x1
	buffer_load_b128 v[26:29], v10, s[12:15], 0 offen
	buffer_load_b128 v[30:33], v1, s[12:15], 0 offen
	v_cmp_gt_i32_e64 s4, s48, v22
	s_lshl_b32 s59, s2, 5
	v_add3_u32 v1, v7, v11, v6
	v_lshlrev_b32_e32 v6, 1, v6
	v_or_b32_e32 v11, 20, v4
	v_or_b32_e32 v4, 16, v4
	s_sub_i32 s22, s9, 32
	v_lshlrev_b32_e32 v7, 1, v1
	s_clause 0x1
	buffer_load_b128 v[34:37], v6, s[28:31], 0 offen
	buffer_load_b128 v[38:41], v7, s[28:31], 0 offen
	v_lshrrev_b32_e32 v6, 5, v0
	v_lshlrev_b32_e32 v7, 1, v0
	v_dual_mov_b32 v135, 0 :: v_dual_lshlrev_b32 v0, 2, v0
	s_clause 0x3
	s_load_b64 s[40:41], s[0:1], 0x198
	s_load_b64 s[34:35], s[0:1], 0x1a8
	s_load_b32 s16, s[0:1], 0x1b4
	s_load_b32 s23, s[0:1], 0x1c0
	v_lshlrev_b32_e32 v8, 6, v6
	v_and_b32_e32 v9, 0x1f8, v7
	v_and_b32_e32 v7, 0x1fc, v7
	v_mul_lo_u32 v10, s2, v4
	s_waitcnt lgkmcnt(0)
	s_mul_i32 s41, s10, 12
	s_lshl_b32 s57, s10, 5
	v_sub_nc_u32_e32 v8, v9, v8
	s_lshl_b32 s58, s10, 6
	v_cmp_le_i32_e64 s9, s21, v167
	s_and_b32 s7, s7, s8
	v_cmp_gt_i32_e64 s5, s37, v3
	v_and_or_b32 v162, v0, 4, v8
	v_mul_lo_u32 v8, s10, v11
	v_mul_lo_u32 v11, s2, v11
	v_cmp_gt_i32_e32 vcc_lo, s61, v23
	s_and_b32 s7, s3, s7
	v_or_b32_e32 v5, 0x4000, v164
	v_or_b32_e32 v165, 0x2000, v164
	v_or_b32_e32 v166, 0x6000, v164
	v_lshlrev_b32_e32 v161, 2, v162
	v_lshlrev_b32_e32 v16, 1, v8
	v_mov_b32_e32 v20, v11
	v_sub_nc_u32_e32 v7, v7, v9
	v_mul_lo_u32 v9, s10, v4
	v_add_nc_u32_e32 v4, s45, v22
	v_dual_mov_b32 v22, v3 :: v_dual_mov_b32 v21, v10
	s_delay_alu instid0(VALU_DEP_4)
	v_lshl_add_u32 v163, v6, 3, v7
	v_mul_lo_u32 v6, s10, v13
	v_mul_lo_u32 v7, s10, v12
	;; [unrolled: 1-line block ×4, first 2 shown]
	v_cmp_gt_i32_e64 s2, s62, v44
	v_cmp_gt_i32_e64 s6, s48, v4
	;; [unrolled: 1-line block ×3, first 2 shown]
	v_lshlrev_b32_e32 v160, 2, v163
	v_lshlrev_b32_e32 v14, 1, v6
	s_and_b32 s3, s4, s2
	v_lshlrev_b32_e32 v15, 1, v7
	s_and_b32 s8, s9, s10
	;; [unrolled: 2-line block ×3, first 2 shown]
	v_dual_mov_b32 v18, v13 :: v_dual_mov_b32 v19, v12
	v_lshlrev_b32_e32 v23, 1, v2
	s_sub_i32 s60, 0, s11
	s_waitcnt vmcnt(3)
	v_cndmask_b32_e64 v27, 0, v27, s3
	v_cndmask_b32_e64 v26, 0, v26, s3
	;; [unrolled: 1-line block ×4, first 2 shown]
	s_and_b32 s3, s6, s2
	ds_store_2addr_stride64_b32 v164, v26, v27 offset0:64 offset1:66
	ds_store_2addr_stride64_b32 v164, v28, v0 offset0:68 offset1:70
	s_waitcnt vmcnt(2)
	v_cndmask_b32_e64 v29, 0, v33, s3
	v_cndmask_b32_e64 v32, 0, v32, s3
	;; [unrolled: 1-line block ×4, first 2 shown]
	s_and_b32 s3, vcc_lo, s7
	s_waitcnt vmcnt(1)
	v_cndmask_b32_e64 v0, 0, v37, s3
	v_cndmask_b32_e64 v26, 0, v36, s3
	;; [unrolled: 1-line block ×4, first 2 shown]
	s_and_b32 s3, vcc_lo, s5
	s_waitcnt vmcnt(0)
	v_cndmask_b32_e64 v34, 0, v39, s3
	v_cndmask_b32_e64 v35, 0, v38, s3
	;; [unrolled: 1-line block ×4, first 2 shown]
	ds_store_2addr_stride64_b32 v164, v30, v31 offset0:72 offset1:74
	ds_store_2addr_stride64_b32 v164, v28, v27 offset1:2
	ds_store_2addr_stride64_b32 v164, v26, v0 offset0:4 offset1:6
	ds_store_2addr_stride64_b32 v164, v35, v34 offset0:8 offset1:10
	ds_store_2addr_stride64_b32 v164, v36, v33 offset0:12 offset1:14
	ds_store_2addr_stride64_b32 v164, v32, v29 offset0:76 offset1:78
.LBB1_1:                                ; =>This Inner Loop Header: Depth=1
	v_mul_hi_u32 v0, s52, v21
	v_add_nc_u32_e32 v28, s54, v10
	v_mul_hi_u32 v35, s52, v20
	v_mul_hi_u32 v27, s52, v19
	;; [unrolled: 1-line block ×3, first 2 shown]
	v_add_nc_u32_e32 v20, s59, v20
	v_cmp_gt_i32_e64 s3, s37, v28
	v_add_nc_u32_e32 v18, s59, v18
	v_add_nc_u32_e32 v0, v28, v0
	s_add_i32 s55, s55, 32
	v_add_nc_u32_e32 v21, s59, v21
	v_add_nc_u32_e32 v19, s59, v19
	s_delay_alu instid0(VALU_DEP_3) | instskip(NEXT) | instid1(VALU_DEP_1)
	v_lshrrev_b32_e32 v36, s51, v0
	v_mul_lo_u32 v0, s60, v36
	v_sub_nc_u32_e32 v24, v36, v24
	s_delay_alu instid0(VALU_DEP_1) | instskip(NEXT) | instid1(VALU_DEP_3)
	v_mul_lo_u32 v24, v24, s44
	v_add_nc_u32_e32 v37, v28, v0
	v_sub_nc_u32_e32 v0, v0, v25
	s_delay_alu instid0(VALU_DEP_1) | instskip(NEXT) | instid1(VALU_DEP_4)
	v_add_nc_u32_e32 v0, v28, v0
	v_add_nc_u32_e32 v25, v24, v167
	v_mul_lo_u32 v24, v24, s17
	s_delay_alu instid0(VALU_DEP_3) | instskip(NEXT) | instid1(VALU_DEP_3)
	v_mul_lo_u32 v0, v0, s18
	v_cmp_le_i32_e64 s4, s21, v25
	v_cmp_gt_i32_e64 s5, s20, v25
	s_delay_alu instid0(VALU_DEP_1) | instskip(NEXT) | instid1(VALU_DEP_3)
	s_and_b32 s4, s4, s5
	v_add3_u32 v38, v24, v1, v0
	s_and_b32 s3, s3, s4
	s_delay_alu instid0(SALU_CYCLE_1) | instskip(NEXT) | instid1(VALU_DEP_1)
	s_and_b32 s3, vcc_lo, s3
	v_lshlrev_b32_e32 v0, 1, v38
	buffer_load_b128 v[31:34], v0, s[28:31], 0 offen
	s_waitcnt vmcnt(0)
	v_cndmask_b32_e64 v30, 0, v32, s3
	v_add_nc_u32_e32 v32, s54, v11
	v_cndmask_b32_e64 v28, 0, v34, s3
	v_cndmask_b32_e64 v29, 0, v33, s3
	;; [unrolled: 1-line block ×3, first 2 shown]
	s_delay_alu instid0(VALU_DEP_4) | instskip(SKIP_1) | instid1(VALU_DEP_2)
	v_add_nc_u32_e32 v0, v32, v35
	v_cmp_gt_i32_e64 s3, s37, v32
	v_lshrrev_b32_e32 v24, s51, v0
	s_delay_alu instid0(VALU_DEP_1) | instskip(SKIP_1) | instid1(VALU_DEP_1)
	v_mad_u64_u32 v[0:1], null, s60, v24, v[32:33]
	v_sub_nc_u32_e32 v1, v24, v36
	v_mul_lo_u32 v34, v1, s44
	s_delay_alu instid0(VALU_DEP_3) | instskip(NEXT) | instid1(VALU_DEP_1)
	v_sub_nc_u32_e32 v33, v0, v37
	v_mul_lo_u32 v33, v33, s18
	s_delay_alu instid0(VALU_DEP_3) | instskip(SKIP_1) | instid1(VALU_DEP_2)
	v_add_nc_u32_e32 v1, v34, v25
	v_mul_lo_u32 v25, v34, s17
	v_cmp_le_i32_e64 s4, s21, v1
	v_cmp_gt_i32_e64 s5, s20, v1
	s_delay_alu instid0(VALU_DEP_3) | instskip(NEXT) | instid1(VALU_DEP_2)
	v_add3_u32 v25, v38, v25, v33
	s_and_b32 s4, s4, s5
	s_delay_alu instid0(SALU_CYCLE_1) | instskip(NEXT) | instid1(VALU_DEP_1)
	s_and_b32 s3, s3, s4
	v_lshlrev_b32_e32 v33, 1, v25
	s_and_b32 s3, vcc_lo, s3
	buffer_load_b128 v[35:38], v33, s[28:31], 0 offen
	s_waitcnt vmcnt(0)
	v_cndmask_b32_e64 v34, 0, v36, s3
	v_add_nc_u32_e32 v36, v17, v23
	v_cndmask_b32_e64 v32, 0, v38, s3
	v_cndmask_b32_e64 v33, 0, v37, s3
	;; [unrolled: 1-line block ×3, first 2 shown]
	v_cmp_gt_i32_e64 s3, s48, v9
	buffer_load_b128 v[39:42], v36, s[12:15], 0 offen
	v_add_nc_u32_e32 v9, s57, v9
	s_and_b32 s3, s2, s3
	s_waitcnt vmcnt(0)
	v_cndmask_b32_e64 v38, 0, v40, s3
	v_add_nc_u32_e32 v40, v16, v23
	v_cndmask_b32_e64 v36, 0, v42, s3
	v_cndmask_b32_e64 v37, 0, v41, s3
	;; [unrolled: 1-line block ×3, first 2 shown]
	v_cmp_gt_i32_e64 s3, s48, v8
	buffer_load_b128 v[43:46], v40, s[12:15], 0 offen
	s_waitcnt vmcnt(0) lgkmcnt(0)
	s_barrier
	v_add_nc_u32_e32 v8, s57, v8
	s_and_b32 s3, s2, s3
	s_delay_alu instid0(SALU_CYCLE_1)
	v_cndmask_b32_e64 v40, 0, v46, s3
	v_cndmask_b32_e64 v41, 0, v45, s3
	v_cndmask_b32_e64 v42, 0, v44, s3
	ds_load_b128 v[44:47], v160
	ds_load_b128 v[48:51], v161 offset:16384
	ds_load_b128 v[52:55], v161 offset:16640
	;; [unrolled: 1-line block ×3, first 2 shown]
	v_cndmask_b32_e64 v43, 0, v43, s3
	s_waitcnt lgkmcnt(2)
	v_dot2acc_f32_f16 v159, v44, v48
	s_waitcnt lgkmcnt(1)
	v_dual_dot2acc_f32_f16 v153, v45, v52 :: v_dual_dot2acc_f32_f16 v158, v44, v49
	v_dual_dot2acc_f32_f16 v111, v47, v51 :: v_dual_dot2acc_f32_f16 v130, v44, v50
	v_dot2acc_f32_f16 v129, v44, v51
	v_dot2acc_f32_f16 v155, v45, v48
	;; [unrolled: 1-line block ×4, first 2 shown]
	v_dual_dot2acc_f32_f16 v120, v45, v51 :: v_dual_dot2acc_f32_f16 v151, v46, v48
	v_dot2acc_f32_f16 v150, v46, v49
	v_dual_dot2acc_f32_f16 v118, v46, v50 :: v_dual_dot2acc_f32_f16 v157, v44, v52
	v_dot2acc_f32_f16 v119, v46, v51
	v_dot2acc_f32_f16 v147, v47, v48
	v_dual_dot2acc_f32_f16 v146, v47, v49 :: v_dual_dot2acc_f32_f16 v125, v44, v54
	v_dual_dot2acc_f32_f16 v112, v47, v50 :: v_dual_dot2acc_f32_f16 v123, v45, v55
	;; [unrolled: 1-line block ×6, first 2 shown]
	s_waitcnt lgkmcnt(0)
	v_dual_dot2acc_f32_f16 v148, v46, v53 :: v_dual_dot2acc_f32_f16 v143, v56, v48
	v_dual_dot2acc_f32_f16 v116, v46, v55 :: v_dual_dot2acc_f32_f16 v139, v57, v48
	v_dual_dot2acc_f32_f16 v144, v47, v53 :: v_dual_dot2acc_f32_f16 v97, v56, v51
	v_dual_dot2acc_f32_f16 v114, v47, v54 :: v_dual_dot2acc_f32_f16 v131, v58, v49
	ds_load_b128 v[44:47], v160 offset:512
	v_dual_dot2acc_f32_f16 v142, v56, v49 :: v_dual_dot2acc_f32_f16 v103, v57, v50
	v_dual_dot2acc_f32_f16 v96, v56, v50 :: v_dual_dot2acc_f32_f16 v133, v59, v49
	v_dual_dot2acc_f32_f16 v138, v57, v49 :: v_dual_dot2acc_f32_f16 v105, v58, v50
	v_dual_dot2acc_f32_f16 v102, v57, v51 :: v_dual_dot2acc_f32_f16 v141, v56, v52
	v_dual_dot2acc_f32_f16 v132, v58, v48 :: v_dual_dot2acc_f32_f16 v113, v59, v51
	v_dual_dot2acc_f32_f16 v104, v58, v51 :: v_dual_dot2acc_f32_f16 v137, v57, v52
	v_dual_dot2acc_f32_f16 v126, v59, v48 :: v_dual_dot2acc_f32_f16 v99, v56, v55
	v_dual_dot2acc_f32_f16 v110, v59, v50 :: v_dual_dot2acc_f32_f16 v127, v58, v53
	ds_load_b128 v[48:51], v161 offset:16896
	v_dual_dot2acc_f32_f16 v140, v56, v53 :: v_dual_dot2acc_f32_f16 v101, v57, v54
	v_dual_dot2acc_f32_f16 v98, v56, v54 :: v_dual_dot2acc_f32_f16 v135, v59, v53
	v_dual_dot2acc_f32_f16 v136, v57, v53 :: v_dual_dot2acc_f32_f16 v107, v58, v54
	v_dot2acc_f32_f16 v100, v57, v55
	v_dual_dot2acc_f32_f16 v128, v58, v52 :: v_dual_dot2acc_f32_f16 v109, v59, v55
	v_dot2acc_f32_f16 v106, v58, v55
	v_dot2acc_f32_f16 v134, v59, v52
	v_dot2acc_f32_f16 v108, v59, v54
	ds_load_b128 v[52:55], v161 offset:17152
	ds_load_b128 v[56:59], v160 offset:768
	s_waitcnt lgkmcnt(2)
	v_dot2acc_f32_f16 v151, v46, v48
	v_dot2acc_f32_f16 v159, v44, v48
	v_dual_dot2acc_f32_f16 v158, v44, v49 :: v_dual_dot2acc_f32_f16 v121, v45, v50
	v_dual_dot2acc_f32_f16 v130, v44, v50 :: v_dual_dot2acc_f32_f16 v119, v46, v51
	v_dot2acc_f32_f16 v129, v44, v51
	v_dot2acc_f32_f16 v155, v45, v48
	v_dual_dot2acc_f32_f16 v154, v45, v49 :: v_dual_dot2acc_f32_f16 v147, v47, v48
	v_dot2acc_f32_f16 v120, v45, v51
	v_dual_dot2acc_f32_f16 v150, v46, v49 :: v_dual_dot2acc_f32_f16 v111, v47, v51
	s_waitcnt lgkmcnt(1)
	v_dual_dot2acc_f32_f16 v118, v46, v50 :: v_dual_dot2acc_f32_f16 v153, v45, v52
	v_dual_dot2acc_f32_f16 v146, v47, v49 :: v_dual_dot2acc_f32_f16 v125, v44, v54
	v_dual_dot2acc_f32_f16 v112, v47, v50 :: v_dual_dot2acc_f32_f16 v123, v45, v55
	v_dot2acc_f32_f16 v157, v44, v52
	v_dual_dot2acc_f32_f16 v156, v44, v53 :: v_dual_dot2acc_f32_f16 v149, v46, v52
	v_dual_dot2acc_f32_f16 v124, v44, v55 :: v_dual_dot2acc_f32_f16 v117, v46, v54
	v_dual_dot2acc_f32_f16 v152, v45, v53 :: v_dual_dot2acc_f32_f16 v145, v47, v52
	v_dual_dot2acc_f32_f16 v122, v45, v54 :: v_dual_dot2acc_f32_f16 v115, v47, v55
	s_waitcnt lgkmcnt(0)
	v_dual_dot2acc_f32_f16 v148, v46, v53 :: v_dual_dot2acc_f32_f16 v143, v56, v48
	v_dual_dot2acc_f32_f16 v116, v46, v55 :: v_dual_dot2acc_f32_f16 v139, v57, v48
	v_dual_dot2acc_f32_f16 v144, v47, v53 :: v_dual_dot2acc_f32_f16 v97, v56, v51
	v_dual_dot2acc_f32_f16 v114, v47, v54 :: v_dual_dot2acc_f32_f16 v131, v58, v49
	ds_load_b128 v[44:47], v160 offset:1024
	v_dual_dot2acc_f32_f16 v142, v56, v49 :: v_dual_dot2acc_f32_f16 v103, v57, v50
	v_dual_dot2acc_f32_f16 v96, v56, v50 :: v_dual_dot2acc_f32_f16 v133, v59, v49
	v_dual_dot2acc_f32_f16 v138, v57, v49 :: v_dual_dot2acc_f32_f16 v105, v58, v50
	v_dual_dot2acc_f32_f16 v102, v57, v51 :: v_dual_dot2acc_f32_f16 v141, v56, v52
	v_dual_dot2acc_f32_f16 v132, v58, v48 :: v_dual_dot2acc_f32_f16 v113, v59, v51
	v_dual_dot2acc_f32_f16 v104, v58, v51 :: v_dual_dot2acc_f32_f16 v137, v57, v52
	v_dual_dot2acc_f32_f16 v126, v59, v48 :: v_dual_dot2acc_f32_f16 v99, v56, v55
	v_dual_dot2acc_f32_f16 v110, v59, v50 :: v_dual_dot2acc_f32_f16 v127, v58, v53
	ds_load_b128 v[48:51], v161 offset:17408
	v_dual_dot2acc_f32_f16 v140, v56, v53 :: v_dual_dot2acc_f32_f16 v101, v57, v54
	v_dual_dot2acc_f32_f16 v98, v56, v54 :: v_dual_dot2acc_f32_f16 v135, v59, v53
	v_dual_dot2acc_f32_f16 v136, v57, v53 :: v_dual_dot2acc_f32_f16 v107, v58, v54
	v_dot2acc_f32_f16 v100, v57, v55
	v_dual_dot2acc_f32_f16 v128, v58, v52 :: v_dual_dot2acc_f32_f16 v109, v59, v55
	v_dot2acc_f32_f16 v106, v58, v55
	v_dot2acc_f32_f16 v134, v59, v52
	v_dot2acc_f32_f16 v108, v59, v54
	ds_load_b128 v[52:55], v161 offset:17664
	ds_load_b128 v[56:59], v160 offset:1280
	s_waitcnt lgkmcnt(2)
	v_dot2acc_f32_f16 v151, v46, v48
	v_dot2acc_f32_f16 v159, v44, v48
	v_dual_dot2acc_f32_f16 v158, v44, v49 :: v_dual_dot2acc_f32_f16 v121, v45, v50
	v_dual_dot2acc_f32_f16 v130, v44, v50 :: v_dual_dot2acc_f32_f16 v119, v46, v51
	v_dot2acc_f32_f16 v129, v44, v51
	v_dot2acc_f32_f16 v155, v45, v48
	v_dual_dot2acc_f32_f16 v154, v45, v49 :: v_dual_dot2acc_f32_f16 v147, v47, v48
	v_dot2acc_f32_f16 v120, v45, v51
	v_dual_dot2acc_f32_f16 v150, v46, v49 :: v_dual_dot2acc_f32_f16 v111, v47, v51
	s_waitcnt lgkmcnt(1)
	v_dual_dot2acc_f32_f16 v118, v46, v50 :: v_dual_dot2acc_f32_f16 v153, v45, v52
	v_dual_dot2acc_f32_f16 v146, v47, v49 :: v_dual_dot2acc_f32_f16 v125, v44, v54
	v_dual_dot2acc_f32_f16 v112, v47, v50 :: v_dual_dot2acc_f32_f16 v123, v45, v55
	v_dot2acc_f32_f16 v157, v44, v52
	v_dual_dot2acc_f32_f16 v156, v44, v53 :: v_dual_dot2acc_f32_f16 v149, v46, v52
	v_dual_dot2acc_f32_f16 v124, v44, v55 :: v_dual_dot2acc_f32_f16 v117, v46, v54
	v_dual_dot2acc_f32_f16 v152, v45, v53 :: v_dual_dot2acc_f32_f16 v145, v47, v52
	v_dual_dot2acc_f32_f16 v122, v45, v54 :: v_dual_dot2acc_f32_f16 v115, v47, v55
	;; [unrolled: 44-line block ×14, first 2 shown]
	s_waitcnt lgkmcnt(0)
	v_dual_dot2acc_f32_f16 v148, v46, v53 :: v_dual_dot2acc_f32_f16 v143, v56, v48
	v_dual_dot2acc_f32_f16 v116, v46, v55 :: v_dual_dot2acc_f32_f16 v139, v57, v48
	;; [unrolled: 1-line block ×4, first 2 shown]
	ds_load_b128 v[44:47], v160 offset:7680
	v_dual_dot2acc_f32_f16 v142, v56, v49 :: v_dual_dot2acc_f32_f16 v103, v57, v50
	v_dual_dot2acc_f32_f16 v96, v56, v50 :: v_dual_dot2acc_f32_f16 v133, v59, v49
	;; [unrolled: 1-line block ×8, first 2 shown]
	ds_load_b128 v[48:51], v161 offset:24064
	v_dual_dot2acc_f32_f16 v140, v56, v53 :: v_dual_dot2acc_f32_f16 v101, v57, v54
	v_dual_dot2acc_f32_f16 v98, v56, v54 :: v_dual_dot2acc_f32_f16 v135, v59, v53
	;; [unrolled: 1-line block ×3, first 2 shown]
	v_dot2acc_f32_f16 v100, v57, v55
	v_dual_dot2acc_f32_f16 v128, v58, v52 :: v_dual_dot2acc_f32_f16 v109, v59, v55
	v_dot2acc_f32_f16 v106, v58, v55
	v_dot2acc_f32_f16 v134, v59, v52
	;; [unrolled: 1-line block ×3, first 2 shown]
	ds_load_b128 v[52:55], v161 offset:24320
	ds_load_b128 v[56:59], v160 offset:7936
	ds_store_2addr_stride64_b32 v164, v31, v30 offset0:32 offset1:34
	ds_store_2addr_stride64_b32 v164, v29, v28 offset0:36 offset1:38
	ds_store_b32 v165, v35 offset:2048
	ds_store_2addr_stride64_b32 v164, v34, v33 offset0:42 offset1:44
	ds_store_2addr_stride64_b32 v164, v32, v39 offset0:46 offset1:96
	;; [unrolled: 1-line block ×3, first 2 shown]
	ds_store_b32 v166, v43 offset:2048
	ds_store_2addr_stride64_b32 v164, v36, v42 offset0:102 offset1:106
	ds_store_2addr_stride64_b32 v164, v41, v40 offset0:108 offset1:110
	s_waitcnt lgkmcnt(11)
	v_dot2acc_f32_f16 v151, v46, v48
	v_dot2acc_f32_f16 v159, v44, v48
	v_dual_dot2acc_f32_f16 v129, v44, v51 :: v_dual_add_nc_u32 v28, s54, v12
	v_dual_dot2acc_f32_f16 v155, v45, v48 :: v_dual_dot2acc_f32_f16 v130, v44, v50
	v_dot2acc_f32_f16 v119, v46, v51
	s_delay_alu instid0(VALU_DEP_3)
	v_add_nc_u32_e32 v27, v28, v27
	v_cmp_gt_i32_e64 s3, s37, v28
	v_dual_dot2acc_f32_f16 v154, v45, v49 :: v_dual_dot2acc_f32_f16 v147, v47, v48
	v_dual_dot2acc_f32_f16 v158, v44, v49 :: v_dual_dot2acc_f32_f16 v121, v45, v50
	s_waitcnt lgkmcnt(9)
	v_dot2acc_f32_f16 v134, v59, v52
	v_lshrrev_b32_e32 v36, s51, v27
	v_dot2acc_f32_f16 v106, v58, v55
	v_dual_dot2acc_f32_f16 v120, v45, v51 :: v_dual_dot2acc_f32_f16 v157, v44, v52
	v_dual_dot2acc_f32_f16 v146, v47, v49 :: v_dual_dot2acc_f32_f16 v125, v44, v54
	s_delay_alu instid0(VALU_DEP_4) | instskip(SKIP_3) | instid1(VALU_DEP_3)
	v_mad_u64_u32 v[34:35], null, s60, v36, v[28:29]
	v_sub_nc_u32_e32 v24, v36, v24
	v_dual_dot2acc_f32_f16 v156, v44, v53 :: v_dual_dot2acc_f32_f16 v149, v46, v52
	v_dual_dot2acc_f32_f16 v124, v44, v55 :: v_dual_dot2acc_f32_f16 v117, v46, v54
	v_mul_lo_u32 v24, v24, s44
	v_sub_nc_u32_e32 v0, v34, v0
	v_dot2acc_f32_f16 v100, v57, v55
	v_dual_dot2acc_f32_f16 v150, v46, v49 :: v_dual_dot2acc_f32_f16 v111, v47, v51
	v_dual_dot2acc_f32_f16 v118, v46, v50 :: v_dual_dot2acc_f32_f16 v153, v45, v52
	s_delay_alu instid0(VALU_DEP_4) | instskip(SKIP_4) | instid1(VALU_DEP_4)
	v_mul_lo_u32 v0, v0, s18
	v_add_nc_u32_e32 v1, v24, v1
	v_mul_lo_u32 v24, v24, s17
	v_dual_dot2acc_f32_f16 v112, v47, v50 :: v_dual_dot2acc_f32_f16 v123, v45, v55
	v_dual_dot2acc_f32_f16 v152, v45, v53 :: v_dual_dot2acc_f32_f16 v145, v47, v52
	v_cmp_le_i32_e64 s4, s21, v1
	v_cmp_gt_i32_e64 s5, s20, v1
	v_dual_dot2acc_f32_f16 v122, v45, v54 :: v_dual_dot2acc_f32_f16 v115, v47, v55
	v_add3_u32 v35, v0, v24, v25
	v_dual_dot2acc_f32_f16 v148, v46, v53 :: v_dual_dot2acc_f32_f16 v143, v56, v48
	s_delay_alu instid0(VALU_DEP_4) | instskip(SKIP_1) | instid1(VALU_DEP_3)
	s_and_b32 s4, s4, s5
	v_dual_dot2acc_f32_f16 v116, v46, v55 :: v_dual_dot2acc_f32_f16 v139, v57, v48
	v_lshlrev_b32_e32 v0, 1, v35
	s_and_b32 s3, s3, s4
	v_dual_dot2acc_f32_f16 v144, v47, v53 :: v_dual_dot2acc_f32_f16 v97, v56, v51
	s_and_b32 s3, vcc_lo, s3
	buffer_load_b128 v[27:30], v0, s[28:31], 0 offen
	v_dual_dot2acc_f32_f16 v114, v47, v54 :: v_dual_dot2acc_f32_f16 v131, v58, v49
	v_dual_dot2acc_f32_f16 v142, v56, v49 :: v_dual_dot2acc_f32_f16 v103, v57, v50
	;; [unrolled: 1-line block ×13, first 2 shown]
	s_waitcnt vmcnt(0)
	v_cndmask_b32_e64 v33, 0, v27, s3
	v_add_nc_u32_e32 v27, s54, v13
	v_cndmask_b32_e64 v30, 0, v30, s3
	v_cndmask_b32_e64 v31, 0, v29, s3
	;; [unrolled: 1-line block ×3, first 2 shown]
	s_add_i32 s3, s53, s56
	v_add_nc_u32_e32 v0, v27, v26
	v_add3_u32 v22, s3, s3, v22
	v_cmp_gt_i32_e64 s3, s37, v27
	s_add_i32 s54, s54, s59
	s_delay_alu instid0(VALU_DEP_3) | instskip(NEXT) | instid1(VALU_DEP_1)
	v_lshrrev_b32_e32 v24, s51, v0
	v_mul_lo_u32 v0, v24, s11
	v_sub_nc_u32_e32 v28, v24, v36
	s_delay_alu instid0(VALU_DEP_1) | instskip(SKIP_1) | instid1(VALU_DEP_4)
	v_mul_lo_u32 v28, v28, s44
	v_dot2acc_f32_f16 v108, v59, v54
	v_sub_nc_u32_e32 v25, v22, v0
	v_mul_lo_u32 v0, s60, v24
	s_delay_alu instid0(VALU_DEP_4) | instskip(SKIP_1) | instid1(VALU_DEP_3)
	v_add_nc_u32_e32 v167, v28, v1
	v_mul_lo_u32 v1, v28, s17
	v_add_nc_u32_e32 v26, v27, v0
	s_delay_alu instid0(VALU_DEP_3) | instskip(SKIP_1) | instid1(VALU_DEP_3)
	v_cmp_le_i32_e64 s4, s21, v167
	v_cmp_gt_i32_e64 s5, s20, v167
	v_sub_nc_u32_e32 v26, v26, v34
	s_delay_alu instid0(VALU_DEP_2) | instskip(NEXT) | instid1(VALU_DEP_1)
	s_and_b32 s4, s4, s5
	v_mul_lo_u32 v26, v26, s18
	s_and_b32 s3, s3, s4
	s_delay_alu instid0(SALU_CYCLE_1) | instskip(NEXT) | instid1(VALU_DEP_1)
	s_and_b32 s3, vcc_lo, s3
	v_add3_u32 v1, v26, v1, v35
	s_delay_alu instid0(VALU_DEP_1)
	v_lshlrev_b32_e32 v26, 1, v1
	buffer_load_b128 v[26:29], v26, s[28:31], 0 offen
	s_waitcnt vmcnt(0)
	v_cndmask_b32_e64 v37, 0, v26, s3
	v_add_nc_u32_e32 v26, v15, v23
	v_cndmask_b32_e64 v34, 0, v29, s3
	v_cndmask_b32_e64 v35, 0, v28, s3
	;; [unrolled: 1-line block ×3, first 2 shown]
	v_cmp_gt_i32_e64 s3, s48, v7
	buffer_load_b128 v[38:41], v26, s[12:15], 0 offen
	v_add_nc_u32_e32 v7, s57, v7
	s_and_b32 s3, s2, s3
	s_waitcnt vmcnt(0)
	v_cndmask_b32_e64 v29, 0, v38, s3
	v_add_nc_u32_e32 v38, v14, v23
	v_cndmask_b32_e64 v26, 0, v41, s3
	v_cndmask_b32_e64 v27, 0, v40, s3
	;; [unrolled: 1-line block ×3, first 2 shown]
	s_add_i32 s3, s45, s41
	buffer_load_b128 v[41:44], v38, s[12:15], 0 offen
	v_add3_u32 v4, s3, s3, v4
	v_cmp_gt_i32_e64 s3, s48, v6
	s_waitcnt vmcnt(0) lgkmcnt(0)
	s_barrier
	v_add_nc_u32_e32 v6, s57, v6
	v_add_nc_u32_e32 v23, s58, v23
	s_and_b32 s3, s2, s3
	s_cmp_lt_i32 s55, s22
	v_cndmask_b32_e64 v38, 0, v44, s3
	v_cndmask_b32_e64 v39, 0, v43, s3
	;; [unrolled: 1-line block ×3, first 2 shown]
	ds_load_b128 v[42:45], v160 offset:8192
	ds_load_b128 v[46:49], v161 offset:24576
	;; [unrolled: 1-line block ×4, first 2 shown]
	v_cndmask_b32_e64 v41, 0, v41, s3
	s_waitcnt lgkmcnt(2)
	v_dot2acc_f32_f16 v121, v43, v48
	v_dot2acc_f32_f16 v159, v42, v46
	v_dual_dot2acc_f32_f16 v158, v42, v47 :: v_dual_dot2acc_f32_f16 v111, v45, v49
	s_waitcnt lgkmcnt(1)
	v_dual_dot2acc_f32_f16 v130, v42, v48 :: v_dual_dot2acc_f32_f16 v153, v43, v50
	v_dot2acc_f32_f16 v129, v42, v49
	v_dot2acc_f32_f16 v155, v43, v46
	v_dual_dot2acc_f32_f16 v154, v43, v47 :: v_dual_dot2acc_f32_f16 v157, v42, v50
	v_dual_dot2acc_f32_f16 v120, v43, v49 :: v_dual_dot2acc_f32_f16 v125, v42, v52
	v_dot2acc_f32_f16 v151, v44, v46
	v_dual_dot2acc_f32_f16 v150, v44, v47 :: v_dual_dot2acc_f32_f16 v123, v43, v53
	v_dual_dot2acc_f32_f16 v118, v44, v48 :: v_dual_dot2acc_f32_f16 v145, v45, v50
	v_dot2acc_f32_f16 v119, v44, v49
	v_dot2acc_f32_f16 v147, v45, v46
	v_dual_dot2acc_f32_f16 v146, v45, v47 :: v_dual_dot2acc_f32_f16 v149, v44, v50
	s_waitcnt lgkmcnt(0)
	v_dual_dot2acc_f32_f16 v112, v45, v48 :: v_dual_dot2acc_f32_f16 v143, v54, v46
	v_dual_dot2acc_f32_f16 v156, v42, v51 :: v_dual_dot2acc_f32_f16 v117, v44, v52
	;; [unrolled: 1-line block ×9, first 2 shown]
	ds_load_b128 v[42:45], v160 offset:8704
	v_dual_dot2acc_f32_f16 v142, v54, v47 :: v_dual_dot2acc_f32_f16 v113, v57, v49
	v_dual_dot2acc_f32_f16 v96, v54, v48 :: v_dual_dot2acc_f32_f16 v137, v55, v50
	v_dual_dot2acc_f32_f16 v138, v55, v47 :: v_dual_dot2acc_f32_f16 v141, v54, v50
	v_dual_dot2acc_f32_f16 v102, v55, v49 :: v_dual_dot2acc_f32_f16 v127, v56, v51
	v_dual_dot2acc_f32_f16 v132, v56, v46 :: v_dual_dot2acc_f32_f16 v99, v54, v53
	v_dual_dot2acc_f32_f16 v104, v56, v49 :: v_dual_dot2acc_f32_f16 v101, v55, v52
	v_dual_dot2acc_f32_f16 v126, v57, v46 :: v_dual_dot2acc_f32_f16 v107, v56, v52
	v_dot2acc_f32_f16 v110, v57, v48
	ds_load_b128 v[46:49], v161 offset:25088
	v_dual_dot2acc_f32_f16 v140, v54, v51 :: v_dual_dot2acc_f32_f16 v109, v57, v53
	v_dual_dot2acc_f32_f16 v98, v54, v52 :: v_dual_dot2acc_f32_f16 v135, v57, v51
	v_dot2acc_f32_f16 v136, v55, v51
	v_dot2acc_f32_f16 v100, v55, v53
	v_dot2acc_f32_f16 v128, v56, v50
	v_dot2acc_f32_f16 v106, v56, v53
	v_dot2acc_f32_f16 v134, v57, v50
	v_dot2acc_f32_f16 v108, v57, v52
	ds_load_b128 v[50:53], v161 offset:25344
	ds_load_b128 v[54:57], v160 offset:8960
	s_waitcnt lgkmcnt(2)
	v_dot2acc_f32_f16 v159, v42, v46
	v_dual_dot2acc_f32_f16 v158, v42, v47 :: v_dual_dot2acc_f32_f16 v147, v45, v46
	v_dual_dot2acc_f32_f16 v130, v42, v48 :: v_dual_dot2acc_f32_f16 v111, v45, v49
	v_dot2acc_f32_f16 v129, v42, v49
	v_dot2acc_f32_f16 v155, v43, v46
	v_dot2acc_f32_f16 v154, v43, v47
	v_dot2acc_f32_f16 v121, v43, v48
	s_waitcnt lgkmcnt(1)
	v_dual_dot2acc_f32_f16 v120, v43, v49 :: v_dual_dot2acc_f32_f16 v149, v44, v50
	v_dot2acc_f32_f16 v151, v44, v46
	v_dual_dot2acc_f32_f16 v150, v44, v47 :: v_dual_dot2acc_f32_f16 v153, v43, v50
	v_dual_dot2acc_f32_f16 v118, v44, v48 :: v_dual_dot2acc_f32_f16 v123, v43, v53
	v_dual_dot2acc_f32_f16 v119, v44, v49 :: v_dual_dot2acc_f32_f16 v146, v45, v47
	v_dot2acc_f32_f16 v117, v44, v52
	s_waitcnt lgkmcnt(0)
	v_dual_dot2acc_f32_f16 v112, v45, v48 :: v_dual_dot2acc_f32_f16 v143, v54, v46
	v_dot2acc_f32_f16 v157, v42, v50
	v_dual_dot2acc_f32_f16 v156, v42, v51 :: v_dual_dot2acc_f32_f16 v145, v45, v50
	v_dot2acc_f32_f16 v125, v42, v52
	v_dual_dot2acc_f32_f16 v124, v42, v53 :: v_dual_dot2acc_f32_f16 v139, v55, v46
	v_dual_dot2acc_f32_f16 v152, v43, v51 :: v_dual_dot2acc_f32_f16 v115, v45, v53
	v_dual_dot2acc_f32_f16 v122, v43, v52 :: v_dual_dot2acc_f32_f16 v97, v54, v49
	v_dual_dot2acc_f32_f16 v148, v44, v51 :: v_dual_dot2acc_f32_f16 v103, v55, v48
	v_dual_dot2acc_f32_f16 v116, v44, v53 :: v_dual_dot2acc_f32_f16 v133, v57, v47
	v_dual_dot2acc_f32_f16 v144, v45, v51 :: v_dual_dot2acc_f32_f16 v105, v56, v48
	v_dual_dot2acc_f32_f16 v114, v45, v52 :: v_dual_dot2acc_f32_f16 v131, v56, v47
	ds_load_b128 v[42:45], v160 offset:9216
	v_dual_dot2acc_f32_f16 v142, v54, v47 :: v_dual_dot2acc_f32_f16 v113, v57, v49
	v_dual_dot2acc_f32_f16 v96, v54, v48 :: v_dual_dot2acc_f32_f16 v137, v55, v50
	v_dual_dot2acc_f32_f16 v138, v55, v47 :: v_dual_dot2acc_f32_f16 v141, v54, v50
	v_dual_dot2acc_f32_f16 v102, v55, v49 :: v_dual_dot2acc_f32_f16 v127, v56, v51
	v_dual_dot2acc_f32_f16 v132, v56, v46 :: v_dual_dot2acc_f32_f16 v99, v54, v53
	v_dual_dot2acc_f32_f16 v104, v56, v49 :: v_dual_dot2acc_f32_f16 v101, v55, v52
	v_dual_dot2acc_f32_f16 v126, v57, v46 :: v_dual_dot2acc_f32_f16 v107, v56, v52
	v_dot2acc_f32_f16 v110, v57, v48
	ds_load_b128 v[46:49], v161 offset:25600
	v_dual_dot2acc_f32_f16 v140, v54, v51 :: v_dual_dot2acc_f32_f16 v109, v57, v53
	v_dual_dot2acc_f32_f16 v98, v54, v52 :: v_dual_dot2acc_f32_f16 v135, v57, v51
	v_dot2acc_f32_f16 v136, v55, v51
	v_dot2acc_f32_f16 v100, v55, v53
	v_dot2acc_f32_f16 v128, v56, v50
	v_dot2acc_f32_f16 v106, v56, v53
	v_dot2acc_f32_f16 v134, v57, v50
	v_dot2acc_f32_f16 v108, v57, v52
	ds_load_b128 v[50:53], v161 offset:25856
	ds_load_b128 v[54:57], v160 offset:9472
	s_waitcnt lgkmcnt(2)
	v_dot2acc_f32_f16 v159, v42, v46
	v_dual_dot2acc_f32_f16 v158, v42, v47 :: v_dual_dot2acc_f32_f16 v147, v45, v46
	v_dual_dot2acc_f32_f16 v130, v42, v48 :: v_dual_dot2acc_f32_f16 v111, v45, v49
	v_dot2acc_f32_f16 v129, v42, v49
	v_dot2acc_f32_f16 v155, v43, v46
	v_dot2acc_f32_f16 v154, v43, v47
	v_dot2acc_f32_f16 v121, v43, v48
	s_waitcnt lgkmcnt(1)
	v_dual_dot2acc_f32_f16 v120, v43, v49 :: v_dual_dot2acc_f32_f16 v149, v44, v50
	v_dot2acc_f32_f16 v151, v44, v46
	v_dual_dot2acc_f32_f16 v150, v44, v47 :: v_dual_dot2acc_f32_f16 v153, v43, v50
	v_dual_dot2acc_f32_f16 v118, v44, v48 :: v_dual_dot2acc_f32_f16 v123, v43, v53
	v_dual_dot2acc_f32_f16 v119, v44, v49 :: v_dual_dot2acc_f32_f16 v146, v45, v47
	v_dot2acc_f32_f16 v117, v44, v52
	s_waitcnt lgkmcnt(0)
	v_dual_dot2acc_f32_f16 v112, v45, v48 :: v_dual_dot2acc_f32_f16 v143, v54, v46
	v_dot2acc_f32_f16 v157, v42, v50
	v_dual_dot2acc_f32_f16 v156, v42, v51 :: v_dual_dot2acc_f32_f16 v145, v45, v50
	v_dot2acc_f32_f16 v125, v42, v52
	v_dual_dot2acc_f32_f16 v124, v42, v53 :: v_dual_dot2acc_f32_f16 v139, v55, v46
	v_dual_dot2acc_f32_f16 v152, v43, v51 :: v_dual_dot2acc_f32_f16 v115, v45, v53
	v_dual_dot2acc_f32_f16 v122, v43, v52 :: v_dual_dot2acc_f32_f16 v97, v54, v49
	v_dual_dot2acc_f32_f16 v148, v44, v51 :: v_dual_dot2acc_f32_f16 v103, v55, v48
	v_dual_dot2acc_f32_f16 v116, v44, v53 :: v_dual_dot2acc_f32_f16 v133, v57, v47
	v_dual_dot2acc_f32_f16 v144, v45, v51 :: v_dual_dot2acc_f32_f16 v105, v56, v48
	v_dual_dot2acc_f32_f16 v114, v45, v52 :: v_dual_dot2acc_f32_f16 v131, v56, v47
	;; [unrolled: 47-line block ×14, first 2 shown]
	ds_load_b128 v[42:45], v160 offset:15872
	v_dual_dot2acc_f32_f16 v142, v54, v47 :: v_dual_dot2acc_f32_f16 v113, v57, v49
	v_dual_dot2acc_f32_f16 v96, v54, v48 :: v_dual_dot2acc_f32_f16 v137, v55, v50
	;; [unrolled: 1-line block ×7, first 2 shown]
	v_dot2acc_f32_f16 v110, v57, v48
	ds_load_b128 v[46:49], v161 offset:32256
	v_dual_dot2acc_f32_f16 v140, v54, v51 :: v_dual_dot2acc_f32_f16 v109, v57, v53
	v_dual_dot2acc_f32_f16 v98, v54, v52 :: v_dual_dot2acc_f32_f16 v135, v57, v51
	v_dot2acc_f32_f16 v136, v55, v51
	v_dot2acc_f32_f16 v100, v55, v53
	;; [unrolled: 1-line block ×6, first 2 shown]
	ds_load_b128 v[50:53], v161 offset:32512
	ds_load_b128 v[54:57], v160 offset:16128
	ds_store_2addr_stride64_b32 v164, v33, v32 offset1:2
	ds_store_2addr_stride64_b32 v164, v31, v30 offset0:4 offset1:6
	ds_store_2addr_stride64_b32 v164, v37, v36 offset0:8 offset1:10
	;; [unrolled: 1-line block ×5, first 2 shown]
	ds_store_b32 v5, v41 offset:2048
	ds_store_2addr_stride64_b32 v164, v40, v39 offset0:74 offset1:76
	ds_store_b32 v164, v38 offset:19968
	s_waitcnt lgkmcnt(11)
	v_dot2acc_f32_f16 v159, v42, v46
	v_dual_dot2acc_f32_f16 v158, v42, v47 :: v_dual_dot2acc_f32_f16 v147, v45, v46
	v_dual_dot2acc_f32_f16 v130, v42, v48 :: v_dual_dot2acc_f32_f16 v111, v45, v49
	v_dot2acc_f32_f16 v129, v42, v49
	v_dot2acc_f32_f16 v155, v43, v46
	;; [unrolled: 1-line block ×4, first 2 shown]
	s_waitcnt lgkmcnt(10)
	v_dual_dot2acc_f32_f16 v120, v43, v49 :: v_dual_dot2acc_f32_f16 v149, v44, v50
	v_dot2acc_f32_f16 v151, v44, v46
	v_dual_dot2acc_f32_f16 v150, v44, v47 :: v_dual_dot2acc_f32_f16 v153, v43, v50
	v_dual_dot2acc_f32_f16 v118, v44, v48 :: v_dual_dot2acc_f32_f16 v123, v43, v53
	;; [unrolled: 1-line block ×3, first 2 shown]
	v_dot2acc_f32_f16 v117, v44, v52
	s_waitcnt lgkmcnt(9)
	v_dual_dot2acc_f32_f16 v112, v45, v48 :: v_dual_dot2acc_f32_f16 v143, v54, v46
	v_dot2acc_f32_f16 v157, v42, v50
	v_dual_dot2acc_f32_f16 v156, v42, v51 :: v_dual_dot2acc_f32_f16 v145, v45, v50
	v_dot2acc_f32_f16 v125, v42, v52
	v_dual_dot2acc_f32_f16 v124, v42, v53 :: v_dual_dot2acc_f32_f16 v139, v55, v46
	v_dual_dot2acc_f32_f16 v152, v43, v51 :: v_dual_dot2acc_f32_f16 v115, v45, v53
	;; [unrolled: 1-line block ×14, first 2 shown]
	v_dot2acc_f32_f16 v110, v57, v48
	v_dual_dot2acc_f32_f16 v140, v54, v51 :: v_dual_dot2acc_f32_f16 v109, v57, v53
	v_dual_dot2acc_f32_f16 v98, v54, v52 :: v_dual_dot2acc_f32_f16 v135, v57, v51
	v_dot2acc_f32_f16 v136, v55, v51
	v_dot2acc_f32_f16 v100, v55, v53
	;; [unrolled: 1-line block ×6, first 2 shown]
	s_cbranch_scc1 .LBB1_1
; %bb.2:
	s_waitcnt lgkmcnt(0)
	s_barrier
	ds_load_b128 v[76:79], v161 offset:16384
	ds_load_b128 v[88:91], v160
	v_add3_u32 v170, s56, s54, v3
	v_add3_u32 v3, v3, v0, s54
	v_add_nc_u32_e32 v172, s41, v4
	ds_load_b128 v[68:71], v161 offset:16640
	ds_load_b128 v[72:75], v160 offset:256
	ds_load_b128 v[8:11], v161 offset:16896
	v_mul_hi_u32 v5, v170, s52
	v_add_nc_u32_e32 v171, s53, v170
	ds_load_b128 v[12:15], v161 offset:17152
	ds_load_b128 v[20:23], v160 offset:512
	;; [unrolled: 1-line block ×3, first 2 shown]
	s_load_b64 s[6:7], s[0:1], 0x10
	s_lshl_b64 s[0:1], s[26:27], 1
	s_mul_i32 s3, s24, s50
	s_mul_hi_u32 s5, s24, s49
	v_add_nc_u32_e32 v5, v170, v5
	s_add_u32 s8, s42, s0
	s_mul_i32 s4, s25, s49
	s_addc_u32 s9, s43, s1
	s_add_i32 s0, s5, s3
	s_mul_i32 s10, s24, s49
	s_waitcnt lgkmcnt(0)
	v_dot2acc_f32_f16 v130, v88, v78
	v_dot2acc_f32_f16 v158, v88, v77
	v_mul_hi_u32 v0, v171, s52
	v_lshrrev_b32_e32 v4, s51, v5
	v_dot2acc_f32_f16 v129, v88, v79
	v_dot2acc_f32_f16 v121, v89, v78
	v_dual_dot2acc_f32_f16 v155, v89, v76 :: v_dual_add_nc_u32 v2, v172, v2
	s_delay_alu instid0(VALU_DEP_4)
	v_mul_lo_u32 v5, v4, s11
	v_sub_nc_u32_e32 v7, v4, v24
	v_add_nc_u32_e32 v0, v171, v0
	ds_load_b128 v[24:27], v161 offset:17408
	ds_load_b128 v[28:31], v161 offset:17664
	v_dual_dot2acc_f32_f16 v135, v75, v69 :: v_dual_dot2acc_f32_f16 v130, v20, v10
	v_mul_lo_u32 v168, v7, s44
	v_lshrrev_b32_e32 v6, s51, v0
	v_sub_nc_u32_e32 v0, v170, v5
	v_add_lshl_u32 v7, v2, s45, 1
	v_dual_dot2acc_f32_f16 v156, v88, v69 :: v_dual_dot2acc_f32_f16 v153, v89, v68
	s_delay_alu instid0(VALU_DEP_4) | instskip(NEXT) | instid1(VALU_DEP_4)
	v_sub_nc_u32_e32 v4, v6, v4
	v_sub_nc_u32_e32 v5, v0, v3
	v_dot2acc_f32_f16 v159, v88, v76
	v_dual_dot2acc_f32_f16 v120, v89, v79 :: v_dual_add_nc_u32 v173, s45, v172
	s_delay_alu instid0(VALU_DEP_4)
	v_mul_lo_u32 v169, v4, s44
	v_mad_u64_u32 v[3:4], null, v6, s11, v[0:1]
	v_mul_lo_u32 v4, v168, s17
	v_mul_lo_u32 v5, v5, s18
	v_dual_dot2acc_f32_f16 v151, v90, v76 :: v_dual_lshlrev_b32 v6, 1, v2
	v_dot2acc_f32_f16 v146, v91, v77
	v_mul_lo_u32 v0, v169, s17
	v_sub_nc_u32_e32 v3, v171, v3
	v_dual_dot2acc_f32_f16 v150, v90, v77 :: v_dual_dot2acc_f32_f16 v147, v91, v76
	v_add3_u32 v38, v5, v4, v1
	v_dot2acc_f32_f16 v154, v89, v77
	v_dual_dot2acc_f32_f16 v116, v90, v71 :: v_dual_dot2acc_f32_f16 v143, v72, v76
	v_mad_u64_u32 v[36:37], null, v3, s18, v[0:1]
	s_delay_alu instid0(VALU_DEP_4)
	v_lshlrev_b32_e32 v37, 1, v38
	buffer_load_b128 v[0:3], v6, s[12:15], 0 offen
	ds_load_b128 v[40:43], v160 offset:1024
	ds_load_b128 v[32:35], v160 offset:1280
	buffer_load_b128 v[4:7], v7, s[12:15], 0 offen
	ds_load_b128 v[44:47], v161 offset:17920
	ds_load_b128 v[60:63], v161 offset:18176
	v_dot2acc_f32_f16 v135, v19, v13
	v_add_lshl_u32 v48, v36, v38, 1
	buffer_load_b128 v[36:39], v37, s[28:31], 0 offen
	ds_load_b128 v[80:83], v160 offset:1536
	ds_load_b128 v[64:67], v160 offset:1792
	ds_load_b128 v[52:55], v161 offset:18432
	v_dual_dot2acc_f32_f16 v139, v73, v76 :: v_dual_dot2acc_f32_f16 v104, v74, v79
	buffer_load_b128 v[84:87], v48, s[28:31], 0 offen
	ds_load_b128 v[48:51], v161 offset:18688
	ds_load_b128 v[92:95], v160 offset:2048
	v_dual_dot2acc_f32_f16 v103, v73, v78 :: v_dual_dot2acc_f32_f16 v132, v74, v76
	v_dual_dot2acc_f32_f16 v126, v75, v76 :: v_dual_dot2acc_f32_f16 v99, v72, v71
	;; [unrolled: 1-line block ×4, first 2 shown]
	s_waitcnt lgkmcnt(7)
	v_dual_dot2acc_f32_f16 v130, v40, v26 :: v_dual_dot2acc_f32_f16 v135, v35, v29
	v_dual_dot2acc_f32_f16 v119, v90, v79 :: v_dual_dot2acc_f32_f16 v112, v91, v78
	;; [unrolled: 1-line block ×30, first 2 shown]
	s_waitcnt lgkmcnt(3)
	v_dual_dot2acc_f32_f16 v130, v80, v46 :: v_dual_dot2acc_f32_f16 v135, v67, v61
	v_add_nc_u32_e32 v8, v168, v167
	ds_load_b128 v[56:59], v160 offset:2304
	v_dual_dot2acc_f32_f16 v121, v21, v10 :: v_dual_dot2acc_f32_f16 v146, v23, v9
	v_dual_dot2acc_f32_f16 v118, v22, v10 :: v_dual_dot2acc_f32_f16 v111, v23, v11
	v_dual_dot2acc_f32_f16 v119, v22, v11 :: v_dual_dot2acc_f32_f16 v112, v23, v10
	v_dual_dot2acc_f32_f16 v157, v20, v12 :: v_dual_dot2acc_f32_f16 v152, v21, v13
	v_dual_dot2acc_f32_f16 v125, v20, v14 :: v_dual_dot2acc_f32_f16 v148, v22, v13
	v_dual_dot2acc_f32_f16 v124, v20, v15 :: v_dual_dot2acc_f32_f16 v149, v22, v12
	v_dual_dot2acc_f32_f16 v122, v21, v14 :: v_dual_dot2acc_f32_f16 v145, v23, v12
	v_dual_dot2acc_f32_f16 v123, v21, v15 :: v_dual_dot2acc_f32_f16 v144, v23, v13
	v_dual_dot2acc_f32_f16 v117, v22, v14 :: v_dual_dot2acc_f32_f16 v142, v16, v9
	v_dual_dot2acc_f32_f16 v114, v23, v14 :: v_dual_dot2acc_f32_f16 v97, v16, v11
	v_dual_dot2acc_f32_f16 v115, v23, v15 :: v_dual_dot2acc_f32_f16 v96, v16, v10
	v_dual_dot2acc_f32_f16 v138, v17, v9 :: v_dual_dot2acc_f32_f16 v105, v18, v10
	v_dual_dot2acc_f32_f16 v102, v17, v11 :: v_dual_dot2acc_f32_f16 v131, v18, v9
	v_dual_dot2acc_f32_f16 v133, v19, v9 :: v_dual_dot2acc_f32_f16 v98, v16, v14
	v_dual_dot2acc_f32_f16 v110, v19, v10 :: v_dual_dot2acc_f32_f16 v141, v16, v12
	v_dual_dot2acc_f32_f16 v113, v19, v11 :: v_dual_dot2acc_f32_f16 v140, v16, v13
	v_dual_dot2acc_f32_f16 v137, v17, v12 :: v_dual_dot2acc_f32_f16 v106, v18, v15
	v_dual_dot2acc_f32_f16 v136, v17, v13 :: v_dual_dot2acc_f32_f16 v107, v18, v14
	v_dual_dot2acc_f32_f16 v101, v17, v14 :: v_dual_dot2acc_f32_f16 v128, v18, v12
	v_dual_dot2acc_f32_f16 v100, v17, v15 :: v_dual_dot2acc_f32_f16 v127, v18, v13
	v_dual_dot2acc_f32_f16 v134, v19, v12 :: v_dual_dot2acc_f32_f16 v129, v40, v27
	v_dual_dot2acc_f32_f16 v108, v19, v14 :: v_dual_dot2acc_f32_f16 v159, v40, v24
	v_dual_dot2acc_f32_f16 v109, v19, v15 :: v_dual_dot2acc_f32_f16 v158, v40, v25
	s_add_i32 s11, s0, s4
	v_cmp_gt_i32_e64 s4, s48, v172
	v_cmp_gt_i32_e64 s3, s48, v173
	v_dual_dot2acc_f32_f16 v156, v80, v61 :: v_dual_dot2acc_f32_f16 v153, v81, v60
	v_add_nc_u32_e32 v9, v169, v8
	v_dual_dot2acc_f32_f16 v155, v41, v24 :: v_dual_dot2acc_f32_f16 v150, v42, v25
	v_dual_dot2acc_f32_f16 v154, v41, v25 :: v_dual_dot2acc_f32_f16 v151, v42, v24
	;; [unrolled: 1-line block ×30, first 2 shown]
	ds_load_b128 v[16:19], v160 offset:2560
	ds_load_b128 v[20:23], v161 offset:18944
	ds_load_b128 v[24:27], v161 offset:19200
	ds_load_b128 v[28:31], v160 offset:2816
	s_lshl_b64 s[10:11], s[10:11], 1
	s_waitcnt lgkmcnt(5)
	v_dot2acc_f32_f16 v156, v92, v49
	s_add_u32 s12, s6, s10
	s_addc_u32 s13, s7, s11
	s_and_b32 s4, s2, s4
	s_and_b32 s2, s2, s3
	v_cmp_le_i32_e64 s3, s21, v8
	v_cmp_gt_i32_e64 s5, s20, v8
	v_cmp_le_i32_e64 s6, s21, v9
	v_cmp_gt_i32_e64 s7, s20, v9
	v_cmp_gt_i32_e64 s0, s37, v170
	;; [unrolled: 1-line block ×3, first 2 shown]
	s_and_b32 s3, s3, s5
	v_dual_dot2acc_f32_f16 v155, v81, v44 :: v_dual_dot2acc_f32_f16 v150, v82, v45
	s_and_b32 s5, s6, s7
	v_dual_dot2acc_f32_f16 v154, v81, v45 :: v_dual_dot2acc_f32_f16 v151, v82, v44
	v_dual_dot2acc_f32_f16 v121, v81, v46 :: v_dual_dot2acc_f32_f16 v146, v83, v45
	;; [unrolled: 1-line block ×29, first 2 shown]
	s_and_b32 s0, s0, s3
	s_and_b32 s1, s1, s5
	s_and_b32 s0, vcc_lo, s0
	s_and_b32 vcc_lo, vcc_lo, s1
	v_dual_dot2acc_f32_f16 v130, v92, v54 :: v_dual_dot2acc_f32_f16 v155, v93, v52
	v_dual_dot2acc_f32_f16 v154, v93, v53 :: v_dual_dot2acc_f32_f16 v151, v94, v52
	;; [unrolled: 1-line block ×11, first 2 shown]
	s_waitcnt lgkmcnt(4)
	v_dual_dot2acc_f32_f16 v117, v94, v50 :: v_dual_dot2acc_f32_f16 v142, v56, v53
	v_dual_dot2acc_f32_f16 v116, v94, v51 :: v_dual_dot2acc_f32_f16 v145, v95, v48
	;; [unrolled: 1-line block ×13, first 2 shown]
	v_dot2acc_f32_f16 v122, v93, v50
	v_dual_dot2acc_f32_f16 v148, v94, v49 :: v_dual_dot2acc_f32_f16 v137, v57, v48
	s_waitcnt vmcnt(0)
	v_dual_dot2acc_f32_f16 v106, v58, v51 :: v_dual_cndmask_b32 v15, 0, v85
	v_cndmask_b32_e32 v11, 0, v84, vcc_lo
	v_dual_dot2acc_f32_f16 v101, v57, v50 :: v_dual_dot2acc_f32_f16 v134, v59, v48
	v_dual_dot2acc_f32_f16 v100, v57, v51 :: v_dual_dot2acc_f32_f16 v127, v58, v49
	s_waitcnt lgkmcnt(2)
	v_dual_dot2acc_f32_f16 v107, v58, v50 :: v_dual_dot2acc_f32_f16 v158, v16, v21
	v_dual_dot2acc_f32_f16 v135, v59, v49 :: v_dual_dot2acc_f32_f16 v130, v16, v22
	;; [unrolled: 1-line block ×9, first 2 shown]
	s_waitcnt lgkmcnt(1)
	v_dual_dot2acc_f32_f16 v147, v19, v20 :: v_dual_dot2acc_f32_f16 v156, v16, v25
	v_dual_dot2acc_f32_f16 v111, v19, v23 :: v_dual_dot2acc_f32_f16 v152, v17, v25
	;; [unrolled: 1-line block ×7, first 2 shown]
	v_dot2acc_f32_f16 v117, v18, v26
	v_dual_dot2acc_f32_f16 v116, v18, v27 :: v_dual_dot2acc_f32_f16 v145, v19, v24
	v_dot2acc_f32_f16 v115, v19, v27
	ds_load_b128 v[16:19], v160 offset:3072
	s_waitcnt lgkmcnt(1)
	v_dot2acc_f32_f16 v96, v28, v22
	v_dual_dot2acc_f32_f16 v143, v28, v20 :: v_dual_dot2acc_f32_f16 v138, v29, v21
	v_dot2acc_f32_f16 v142, v28, v21
	v_dual_dot2acc_f32_f16 v97, v28, v23 :: v_dual_dot2acc_f32_f16 v132, v30, v20
	v_dual_dot2acc_f32_f16 v139, v29, v20 :: v_dual_dot2acc_f32_f16 v104, v30, v23
	;; [unrolled: 1-line block ×7, first 2 shown]
	ds_load_b128 v[32:35], v161 offset:19456
	v_dual_dot2acc_f32_f16 v113, v31, v23 :: v_dual_dot2acc_f32_f16 v136, v29, v25
	v_dual_dot2acc_f32_f16 v99, v28, v27 :: v_dual_dot2acc_f32_f16 v128, v30, v24
	;; [unrolled: 1-line block ×5, first 2 shown]
	ds_load_b128 v[20:23], v161 offset:19712
	v_dot2acc_f32_f16 v107, v30, v26
	v_dot2acc_f32_f16 v135, v31, v25
	v_dot2acc_f32_f16 v108, v31, v26
	v_dot2acc_f32_f16 v109, v31, v27
	ds_load_b128 v[24:27], v160 offset:3328
	ds_load_b128 v[28:31], v161 offset:19968
	v_cndmask_b32_e64 v12, 0, v37, s0
	v_cndmask_b32_e64 v14, 0, v36, s0
	s_waitcnt lgkmcnt(3)
	v_dot2acc_f32_f16 v159, v16, v32
	v_dot2acc_f32_f16 v158, v16, v33
	;; [unrolled: 1-line block ×3, first 2 shown]
	v_dual_dot2acc_f32_f16 v129, v16, v35 :: v_dual_dot2acc_f32_f16 v150, v18, v33
	v_dual_dot2acc_f32_f16 v155, v17, v32 :: v_dual_dot2acc_f32_f16 v118, v18, v34
	v_dot2acc_f32_f16 v154, v17, v33
	v_dual_dot2acc_f32_f16 v121, v17, v34 :: v_dual_dot2acc_f32_f16 v146, v19, v33
	v_dual_dot2acc_f32_f16 v120, v17, v35 :: v_dual_dot2acc_f32_f16 v151, v18, v32
	;; [unrolled: 1-line block ×3, first 2 shown]
	s_waitcnt lgkmcnt(2)
	v_dual_dot2acc_f32_f16 v147, v19, v32 :: v_dual_dot2acc_f32_f16 v156, v16, v21
	v_dual_dot2acc_f32_f16 v111, v19, v35 :: v_dual_dot2acc_f32_f16 v152, v17, v21
	;; [unrolled: 1-line block ×7, first 2 shown]
	v_dot2acc_f32_f16 v117, v18, v22
	v_dual_dot2acc_f32_f16 v116, v18, v23 :: v_dual_dot2acc_f32_f16 v145, v19, v20
	v_dot2acc_f32_f16 v115, v19, v23
	ds_load_b128 v[16:19], v160 offset:3584
	s_waitcnt lgkmcnt(2)
	v_dot2acc_f32_f16 v96, v24, v34
	v_dual_dot2acc_f32_f16 v143, v24, v32 :: v_dual_dot2acc_f32_f16 v138, v25, v33
	v_dot2acc_f32_f16 v142, v24, v33
	v_dual_dot2acc_f32_f16 v97, v24, v35 :: v_dual_dot2acc_f32_f16 v132, v26, v32
	v_dual_dot2acc_f32_f16 v139, v25, v32 :: v_dual_dot2acc_f32_f16 v104, v26, v35
	;; [unrolled: 1-line block ×12, first 2 shown]
	ds_load_b128 v[32:35], v161 offset:20224
	s_waitcnt lgkmcnt(1)
	v_dual_dot2acc_f32_f16 v107, v26, v22 :: v_dual_dot2acc_f32_f16 v158, v16, v29
	v_dual_dot2acc_f32_f16 v135, v27, v21 :: v_dual_dot2acc_f32_f16 v130, v16, v30
	;; [unrolled: 1-line block ×4, first 2 shown]
	ds_load_b128 v[20:23], v160 offset:3840
	v_dual_dot2acc_f32_f16 v129, v16, v31 :: v_dual_dot2acc_f32_f16 v150, v18, v29
	v_dual_dot2acc_f32_f16 v155, v17, v28 :: v_dual_dot2acc_f32_f16 v118, v18, v30
	;; [unrolled: 1-line block ×5, first 2 shown]
	s_waitcnt lgkmcnt(1)
	v_dual_dot2acc_f32_f16 v147, v19, v28 :: v_dual_dot2acc_f32_f16 v156, v16, v33
	v_dual_dot2acc_f32_f16 v111, v19, v31 :: v_dual_dot2acc_f32_f16 v152, v17, v33
	;; [unrolled: 1-line block ×7, first 2 shown]
	v_dot2acc_f32_f16 v117, v18, v34
	v_dual_dot2acc_f32_f16 v116, v18, v35 :: v_dual_dot2acc_f32_f16 v145, v19, v32
	v_dot2acc_f32_f16 v115, v19, v35
	ds_load_b128 v[16:19], v160 offset:4096
	s_waitcnt lgkmcnt(1)
	v_dot2acc_f32_f16 v96, v20, v30
	v_dual_dot2acc_f32_f16 v143, v20, v28 :: v_dual_dot2acc_f32_f16 v138, v21, v29
	v_dot2acc_f32_f16 v142, v20, v29
	v_dual_dot2acc_f32_f16 v97, v20, v31 :: v_dual_dot2acc_f32_f16 v132, v22, v28
	v_dual_dot2acc_f32_f16 v139, v21, v28 :: v_dual_dot2acc_f32_f16 v104, v22, v31
	;; [unrolled: 1-line block ×7, first 2 shown]
	ds_load_b128 v[24:27], v161 offset:20480
	v_dual_dot2acc_f32_f16 v113, v23, v31 :: v_dual_dot2acc_f32_f16 v136, v21, v33
	v_dual_dot2acc_f32_f16 v99, v20, v35 :: v_dual_dot2acc_f32_f16 v128, v22, v32
	v_dual_dot2acc_f32_f16 v137, v21, v32 :: v_dual_dot2acc_f32_f16 v106, v22, v35
	v_dual_dot2acc_f32_f16 v101, v21, v34 :: v_dual_dot2acc_f32_f16 v134, v23, v32
	v_dual_dot2acc_f32_f16 v100, v21, v35 :: v_dual_dot2acc_f32_f16 v127, v22, v33
	ds_load_b128 v[28:31], v161 offset:20736
	v_dot2acc_f32_f16 v107, v22, v34
	v_dot2acc_f32_f16 v135, v23, v33
	;; [unrolled: 1-line block ×4, first 2 shown]
	ds_load_b128 v[20:23], v160 offset:4352
	ds_load_b128 v[32:35], v161 offset:20992
	v_cndmask_b32_e64 v8, 0, v1, s4
	v_cndmask_b32_e64 v9, 0, v0, s4
	s_waitcnt lgkmcnt(3)
	v_dot2acc_f32_f16 v159, v16, v24
	v_dot2acc_f32_f16 v158, v16, v25
	v_dot2acc_f32_f16 v130, v16, v26
	v_dual_dot2acc_f32_f16 v129, v16, v27 :: v_dual_dot2acc_f32_f16 v150, v18, v25
	v_dual_dot2acc_f32_f16 v155, v17, v24 :: v_dual_dot2acc_f32_f16 v118, v18, v26
	v_dot2acc_f32_f16 v154, v17, v25
	v_dual_dot2acc_f32_f16 v121, v17, v26 :: v_dual_dot2acc_f32_f16 v146, v19, v25
	v_dual_dot2acc_f32_f16 v120, v17, v27 :: v_dual_dot2acc_f32_f16 v151, v18, v24
	;; [unrolled: 1-line block ×3, first 2 shown]
	s_waitcnt lgkmcnt(2)
	v_dual_dot2acc_f32_f16 v147, v19, v24 :: v_dual_dot2acc_f32_f16 v156, v16, v29
	v_dual_dot2acc_f32_f16 v111, v19, v27 :: v_dual_dot2acc_f32_f16 v152, v17, v29
	;; [unrolled: 1-line block ×7, first 2 shown]
	v_dot2acc_f32_f16 v117, v18, v30
	v_dual_dot2acc_f32_f16 v116, v18, v31 :: v_dual_dot2acc_f32_f16 v145, v19, v28
	v_dot2acc_f32_f16 v115, v19, v31
	ds_load_b128 v[16:19], v160 offset:4608
	s_waitcnt lgkmcnt(2)
	v_dot2acc_f32_f16 v96, v20, v26
	v_dual_dot2acc_f32_f16 v143, v20, v24 :: v_dual_dot2acc_f32_f16 v138, v21, v25
	v_dot2acc_f32_f16 v142, v20, v25
	v_dual_dot2acc_f32_f16 v97, v20, v27 :: v_dual_dot2acc_f32_f16 v132, v22, v24
	v_dual_dot2acc_f32_f16 v139, v21, v24 :: v_dual_dot2acc_f32_f16 v104, v22, v27
	;; [unrolled: 1-line block ×12, first 2 shown]
	ds_load_b128 v[24:27], v161 offset:21248
	s_waitcnt lgkmcnt(1)
	v_dual_dot2acc_f32_f16 v107, v22, v30 :: v_dual_dot2acc_f32_f16 v158, v16, v33
	v_dual_dot2acc_f32_f16 v135, v23, v29 :: v_dual_dot2acc_f32_f16 v130, v16, v34
	;; [unrolled: 1-line block ×4, first 2 shown]
	ds_load_b128 v[20:23], v160 offset:4864
	v_dual_dot2acc_f32_f16 v129, v16, v35 :: v_dual_dot2acc_f32_f16 v150, v18, v33
	v_dual_dot2acc_f32_f16 v155, v17, v32 :: v_dual_dot2acc_f32_f16 v118, v18, v34
	;; [unrolled: 1-line block ×5, first 2 shown]
	s_waitcnt lgkmcnt(1)
	v_dual_dot2acc_f32_f16 v147, v19, v32 :: v_dual_dot2acc_f32_f16 v156, v16, v25
	v_dual_dot2acc_f32_f16 v111, v19, v35 :: v_dual_dot2acc_f32_f16 v152, v17, v25
	;; [unrolled: 1-line block ×7, first 2 shown]
	v_dot2acc_f32_f16 v117, v18, v26
	v_dual_dot2acc_f32_f16 v116, v18, v27 :: v_dual_dot2acc_f32_f16 v145, v19, v24
	v_dot2acc_f32_f16 v115, v19, v27
	ds_load_b128 v[16:19], v160 offset:5120
	s_waitcnt lgkmcnt(1)
	v_dot2acc_f32_f16 v96, v20, v34
	v_dual_dot2acc_f32_f16 v143, v20, v32 :: v_dual_dot2acc_f32_f16 v138, v21, v33
	v_dot2acc_f32_f16 v142, v20, v33
	v_dual_dot2acc_f32_f16 v97, v20, v35 :: v_dual_dot2acc_f32_f16 v132, v22, v32
	v_dual_dot2acc_f32_f16 v139, v21, v32 :: v_dual_dot2acc_f32_f16 v104, v22, v35
	v_dual_dot2acc_f32_f16 v103, v21, v34 :: v_dual_dot2acc_f32_f16 v126, v23, v32
	v_dual_dot2acc_f32_f16 v102, v21, v35 :: v_dual_dot2acc_f32_f16 v131, v22, v33
	v_dual_dot2acc_f32_f16 v105, v22, v34 :: v_dual_dot2acc_f32_f16 v140, v20, v25
	v_dual_dot2acc_f32_f16 v133, v23, v33 :: v_dual_dot2acc_f32_f16 v98, v20, v26
	v_dual_dot2acc_f32_f16 v110, v23, v34 :: v_dual_dot2acc_f32_f16 v141, v20, v24
	ds_load_b128 v[28:31], v161 offset:21504
	v_dual_dot2acc_f32_f16 v113, v23, v35 :: v_dual_dot2acc_f32_f16 v136, v21, v25
	v_dual_dot2acc_f32_f16 v99, v20, v27 :: v_dual_dot2acc_f32_f16 v128, v22, v24
	;; [unrolled: 1-line block ×5, first 2 shown]
	ds_load_b128 v[32:35], v161 offset:21760
	v_dot2acc_f32_f16 v107, v22, v26
	v_dot2acc_f32_f16 v135, v23, v25
	;; [unrolled: 1-line block ×4, first 2 shown]
	ds_load_b128 v[20:23], v160 offset:5376
	ds_load_b128 v[24:27], v161 offset:22016
	v_cndmask_b32_e64 v0, 0, v7, s2
	v_cndmask_b32_e64 v1, 0, v6, s2
	s_waitcnt lgkmcnt(3)
	v_dot2acc_f32_f16 v159, v16, v28
	v_dot2acc_f32_f16 v158, v16, v29
	v_dot2acc_f32_f16 v130, v16, v30
	v_dual_dot2acc_f32_f16 v129, v16, v31 :: v_dual_dot2acc_f32_f16 v150, v18, v29
	v_dual_dot2acc_f32_f16 v155, v17, v28 :: v_dual_dot2acc_f32_f16 v118, v18, v30
	v_dot2acc_f32_f16 v154, v17, v29
	v_dual_dot2acc_f32_f16 v121, v17, v30 :: v_dual_dot2acc_f32_f16 v146, v19, v29
	v_dual_dot2acc_f32_f16 v120, v17, v31 :: v_dual_dot2acc_f32_f16 v151, v18, v28
	;; [unrolled: 1-line block ×3, first 2 shown]
	s_waitcnt lgkmcnt(2)
	v_dual_dot2acc_f32_f16 v147, v19, v28 :: v_dual_dot2acc_f32_f16 v156, v16, v33
	v_dual_dot2acc_f32_f16 v111, v19, v31 :: v_dual_dot2acc_f32_f16 v152, v17, v33
	;; [unrolled: 1-line block ×7, first 2 shown]
	v_dot2acc_f32_f16 v117, v18, v34
	v_dual_dot2acc_f32_f16 v116, v18, v35 :: v_dual_dot2acc_f32_f16 v145, v19, v32
	v_dot2acc_f32_f16 v115, v19, v35
	ds_load_b128 v[16:19], v160 offset:5632
	s_waitcnt lgkmcnt(2)
	v_dot2acc_f32_f16 v96, v20, v30
	v_dual_dot2acc_f32_f16 v143, v20, v28 :: v_dual_dot2acc_f32_f16 v138, v21, v29
	v_dot2acc_f32_f16 v142, v20, v29
	v_dual_dot2acc_f32_f16 v97, v20, v31 :: v_dual_dot2acc_f32_f16 v132, v22, v28
	v_dual_dot2acc_f32_f16 v139, v21, v28 :: v_dual_dot2acc_f32_f16 v104, v22, v31
	v_dual_dot2acc_f32_f16 v103, v21, v30 :: v_dual_dot2acc_f32_f16 v126, v23, v28
	v_dual_dot2acc_f32_f16 v102, v21, v31 :: v_dual_dot2acc_f32_f16 v131, v22, v29
	v_dual_dot2acc_f32_f16 v105, v22, v30 :: v_dual_dot2acc_f32_f16 v140, v20, v33
	v_dual_dot2acc_f32_f16 v133, v23, v29 :: v_dual_dot2acc_f32_f16 v98, v20, v34
	v_dual_dot2acc_f32_f16 v110, v23, v30 :: v_dual_dot2acc_f32_f16 v141, v20, v32
	v_dual_dot2acc_f32_f16 v113, v23, v31 :: v_dual_dot2acc_f32_f16 v136, v21, v33
	v_dual_dot2acc_f32_f16 v99, v20, v35 :: v_dual_dot2acc_f32_f16 v128, v22, v32
	v_dual_dot2acc_f32_f16 v137, v21, v32 :: v_dual_dot2acc_f32_f16 v106, v22, v35
	v_dual_dot2acc_f32_f16 v101, v21, v34 :: v_dual_dot2acc_f32_f16 v134, v23, v32
	v_dual_dot2acc_f32_f16 v100, v21, v35 :: v_dual_dot2acc_f32_f16 v127, v22, v33
	ds_load_b128 v[28:31], v161 offset:22272
	s_waitcnt lgkmcnt(1)
	v_dual_dot2acc_f32_f16 v107, v22, v34 :: v_dual_dot2acc_f32_f16 v158, v16, v25
	v_dual_dot2acc_f32_f16 v135, v23, v33 :: v_dual_dot2acc_f32_f16 v130, v16, v26
	;; [unrolled: 1-line block ×4, first 2 shown]
	ds_load_b128 v[20:23], v160 offset:5888
	v_dual_dot2acc_f32_f16 v129, v16, v27 :: v_dual_dot2acc_f32_f16 v150, v18, v25
	v_dual_dot2acc_f32_f16 v155, v17, v24 :: v_dual_dot2acc_f32_f16 v118, v18, v26
	v_dual_dot2acc_f32_f16 v121, v17, v26 :: v_dual_dot2acc_f32_f16 v146, v19, v25
	v_dual_dot2acc_f32_f16 v120, v17, v27 :: v_dual_dot2acc_f32_f16 v151, v18, v24
	v_dual_dot2acc_f32_f16 v119, v18, v27 :: v_dual_dot2acc_f32_f16 v112, v19, v26
	s_waitcnt lgkmcnt(1)
	v_dual_dot2acc_f32_f16 v147, v19, v24 :: v_dual_dot2acc_f32_f16 v156, v16, v29
	v_dual_dot2acc_f32_f16 v111, v19, v27 :: v_dual_dot2acc_f32_f16 v152, v17, v29
	;; [unrolled: 1-line block ×7, first 2 shown]
	v_dot2acc_f32_f16 v117, v18, v30
	v_dual_dot2acc_f32_f16 v116, v18, v31 :: v_dual_dot2acc_f32_f16 v145, v19, v28
	v_dot2acc_f32_f16 v115, v19, v31
	ds_load_b128 v[16:19], v160 offset:6144
	s_waitcnt lgkmcnt(1)
	v_dot2acc_f32_f16 v96, v20, v26
	v_dual_dot2acc_f32_f16 v143, v20, v24 :: v_dual_dot2acc_f32_f16 v138, v21, v25
	v_dot2acc_f32_f16 v142, v20, v25
	v_dual_dot2acc_f32_f16 v97, v20, v27 :: v_dual_dot2acc_f32_f16 v132, v22, v24
	v_dual_dot2acc_f32_f16 v139, v21, v24 :: v_dual_dot2acc_f32_f16 v104, v22, v27
	;; [unrolled: 1-line block ×7, first 2 shown]
	ds_load_b128 v[32:35], v161 offset:22528
	v_dual_dot2acc_f32_f16 v113, v23, v27 :: v_dual_dot2acc_f32_f16 v136, v21, v29
	v_dual_dot2acc_f32_f16 v99, v20, v31 :: v_dual_dot2acc_f32_f16 v128, v22, v28
	;; [unrolled: 1-line block ×5, first 2 shown]
	ds_load_b128 v[24:27], v161 offset:22784
	v_dot2acc_f32_f16 v107, v22, v30
	v_dot2acc_f32_f16 v135, v23, v29
	;; [unrolled: 1-line block ×4, first 2 shown]
	ds_load_b128 v[20:23], v160 offset:6400
	ds_load_b128 v[28:31], v161 offset:23040
	v_cndmask_b32_e64 v6, 0, v39, s0
	v_cndmask_b32_e64 v7, 0, v38, s0
	s_waitcnt lgkmcnt(3)
	v_dot2acc_f32_f16 v159, v16, v32
	v_dot2acc_f32_f16 v158, v16, v33
	;; [unrolled: 1-line block ×3, first 2 shown]
	v_dual_dot2acc_f32_f16 v129, v16, v35 :: v_dual_dot2acc_f32_f16 v150, v18, v33
	v_dual_dot2acc_f32_f16 v155, v17, v32 :: v_dual_dot2acc_f32_f16 v118, v18, v34
	v_dot2acc_f32_f16 v154, v17, v33
	v_dual_dot2acc_f32_f16 v121, v17, v34 :: v_dual_dot2acc_f32_f16 v146, v19, v33
	v_dual_dot2acc_f32_f16 v120, v17, v35 :: v_dual_dot2acc_f32_f16 v151, v18, v32
	v_dual_dot2acc_f32_f16 v119, v18, v35 :: v_dual_dot2acc_f32_f16 v112, v19, v34
	s_waitcnt lgkmcnt(2)
	v_dual_dot2acc_f32_f16 v147, v19, v32 :: v_dual_dot2acc_f32_f16 v156, v16, v25
	v_dual_dot2acc_f32_f16 v111, v19, v35 :: v_dual_dot2acc_f32_f16 v152, v17, v25
	;; [unrolled: 1-line block ×7, first 2 shown]
	v_dot2acc_f32_f16 v117, v18, v26
	v_dual_dot2acc_f32_f16 v116, v18, v27 :: v_dual_dot2acc_f32_f16 v145, v19, v24
	v_dot2acc_f32_f16 v115, v19, v27
	ds_load_b128 v[16:19], v160 offset:6656
	s_waitcnt lgkmcnt(2)
	v_dot2acc_f32_f16 v96, v20, v34
	v_dual_dot2acc_f32_f16 v143, v20, v32 :: v_dual_dot2acc_f32_f16 v138, v21, v33
	v_dot2acc_f32_f16 v142, v20, v33
	v_dual_dot2acc_f32_f16 v97, v20, v35 :: v_dual_dot2acc_f32_f16 v132, v22, v32
	v_dual_dot2acc_f32_f16 v139, v21, v32 :: v_dual_dot2acc_f32_f16 v104, v22, v35
	;; [unrolled: 1-line block ×12, first 2 shown]
	ds_load_b128 v[32:35], v161 offset:23296
	s_waitcnt lgkmcnt(1)
	v_dual_dot2acc_f32_f16 v107, v22, v26 :: v_dual_dot2acc_f32_f16 v158, v16, v29
	v_dual_dot2acc_f32_f16 v135, v23, v25 :: v_dual_dot2acc_f32_f16 v130, v16, v30
	;; [unrolled: 1-line block ×4, first 2 shown]
	ds_load_b128 v[20:23], v160 offset:6912
	v_dual_dot2acc_f32_f16 v129, v16, v31 :: v_dual_dot2acc_f32_f16 v150, v18, v29
	v_dual_dot2acc_f32_f16 v155, v17, v28 :: v_dual_dot2acc_f32_f16 v118, v18, v30
	;; [unrolled: 1-line block ×5, first 2 shown]
	s_waitcnt lgkmcnt(1)
	v_dual_dot2acc_f32_f16 v147, v19, v28 :: v_dual_dot2acc_f32_f16 v156, v16, v33
	v_dual_dot2acc_f32_f16 v111, v19, v31 :: v_dual_dot2acc_f32_f16 v152, v17, v33
	;; [unrolled: 1-line block ×7, first 2 shown]
	v_dot2acc_f32_f16 v117, v18, v34
	v_dual_dot2acc_f32_f16 v116, v18, v35 :: v_dual_dot2acc_f32_f16 v145, v19, v32
	v_dot2acc_f32_f16 v115, v19, v35
	ds_load_b128 v[16:19], v160 offset:7168
	s_waitcnt lgkmcnt(1)
	v_dot2acc_f32_f16 v96, v20, v30
	v_dual_dot2acc_f32_f16 v143, v20, v28 :: v_dual_dot2acc_f32_f16 v138, v21, v29
	v_dot2acc_f32_f16 v142, v20, v29
	v_dual_dot2acc_f32_f16 v97, v20, v31 :: v_dual_dot2acc_f32_f16 v132, v22, v28
	v_dual_dot2acc_f32_f16 v139, v21, v28 :: v_dual_dot2acc_f32_f16 v104, v22, v31
	;; [unrolled: 1-line block ×7, first 2 shown]
	ds_load_b128 v[24:27], v161 offset:23552
	v_dual_dot2acc_f32_f16 v113, v23, v31 :: v_dual_dot2acc_f32_f16 v136, v21, v33
	v_dual_dot2acc_f32_f16 v99, v20, v35 :: v_dual_dot2acc_f32_f16 v128, v22, v32
	;; [unrolled: 1-line block ×5, first 2 shown]
	ds_load_b128 v[28:31], v161 offset:23808
	v_dot2acc_f32_f16 v107, v22, v34
	v_dot2acc_f32_f16 v135, v23, v33
	;; [unrolled: 1-line block ×4, first 2 shown]
	ds_load_b128 v[20:23], v160 offset:7424
	ds_load_b128 v[32:35], v161 offset:24064
	v_dual_cndmask_b32 v10, 0, v87 :: v_dual_cndmask_b32 v13, 0, v86
	s_waitcnt lgkmcnt(3)
	v_dot2acc_f32_f16 v159, v16, v24
	v_dot2acc_f32_f16 v158, v16, v25
	;; [unrolled: 1-line block ×3, first 2 shown]
	v_dual_dot2acc_f32_f16 v129, v16, v27 :: v_dual_dot2acc_f32_f16 v150, v18, v25
	v_dual_dot2acc_f32_f16 v155, v17, v24 :: v_dual_dot2acc_f32_f16 v118, v18, v26
	v_dot2acc_f32_f16 v154, v17, v25
	v_dual_dot2acc_f32_f16 v121, v17, v26 :: v_dual_dot2acc_f32_f16 v146, v19, v25
	v_dual_dot2acc_f32_f16 v120, v17, v27 :: v_dual_dot2acc_f32_f16 v151, v18, v24
	;; [unrolled: 1-line block ×3, first 2 shown]
	s_waitcnt lgkmcnt(2)
	v_dual_dot2acc_f32_f16 v147, v19, v24 :: v_dual_dot2acc_f32_f16 v156, v16, v29
	v_dual_dot2acc_f32_f16 v111, v19, v27 :: v_dual_dot2acc_f32_f16 v152, v17, v29
	;; [unrolled: 1-line block ×7, first 2 shown]
	v_dot2acc_f32_f16 v117, v18, v30
	v_dual_dot2acc_f32_f16 v116, v18, v31 :: v_dual_dot2acc_f32_f16 v145, v19, v28
	v_dot2acc_f32_f16 v115, v19, v31
	ds_load_b128 v[16:19], v160 offset:7680
	s_waitcnt lgkmcnt(2)
	v_dot2acc_f32_f16 v96, v20, v26
	v_dual_dot2acc_f32_f16 v143, v20, v24 :: v_dual_dot2acc_f32_f16 v138, v21, v25
	v_dot2acc_f32_f16 v142, v20, v25
	v_dual_dot2acc_f32_f16 v97, v20, v27 :: v_dual_dot2acc_f32_f16 v132, v22, v24
	v_dual_dot2acc_f32_f16 v139, v21, v24 :: v_dual_dot2acc_f32_f16 v104, v22, v27
	v_dual_dot2acc_f32_f16 v103, v21, v26 :: v_dual_dot2acc_f32_f16 v126, v23, v24
	v_dual_dot2acc_f32_f16 v102, v21, v27 :: v_dual_dot2acc_f32_f16 v131, v22, v25
	v_dual_dot2acc_f32_f16 v105, v22, v26 :: v_dual_dot2acc_f32_f16 v140, v20, v29
	v_dual_dot2acc_f32_f16 v133, v23, v25 :: v_dual_dot2acc_f32_f16 v98, v20, v30
	v_dual_dot2acc_f32_f16 v110, v23, v26 :: v_dual_dot2acc_f32_f16 v141, v20, v28
	v_dual_dot2acc_f32_f16 v113, v23, v27 :: v_dual_dot2acc_f32_f16 v136, v21, v29
	v_dual_dot2acc_f32_f16 v99, v20, v31 :: v_dual_dot2acc_f32_f16 v128, v22, v28
	v_dual_dot2acc_f32_f16 v137, v21, v28 :: v_dual_dot2acc_f32_f16 v106, v22, v31
	v_dual_dot2acc_f32_f16 v101, v21, v30 :: v_dual_dot2acc_f32_f16 v134, v23, v28
	v_dual_dot2acc_f32_f16 v100, v21, v31 :: v_dual_dot2acc_f32_f16 v127, v22, v29
	v_dot2acc_f32_f16 v107, v22, v30
	v_dot2acc_f32_f16 v135, v23, v29
	ds_load_b128 v[24:27], v161 offset:24320
	v_dot2acc_f32_f16 v108, v23, v30
	v_dot2acc_f32_f16 v109, v23, v31
	ds_load_b128 v[20:23], v160 offset:7936
	s_waitcnt lgkmcnt(2)
	v_dot2acc_f32_f16 v154, v17, v33
	v_cndmask_b32_e64 v3, 0, v3, s4
	v_cndmask_b32_e64 v2, 0, v2, s4
	;; [unrolled: 1-line block ×4, first 2 shown]
	ds_store_2addr_stride64_b32 v164, v14, v12 offset0:32 offset1:34
	ds_store_2addr_stride64_b32 v164, v7, v6 offset0:36 offset1:38
	;; [unrolled: 1-line block ×5, first 2 shown]
	ds_store_b32 v165, v11 offset:2048
	ds_store_b32 v166, v4 offset:2048
	ds_store_2addr_stride64_b32 v164, v3, v5 offset0:102 offset1:106
	ds_store_2addr_stride64_b32 v164, v1, v0 offset0:108 offset1:110
	s_waitcnt lgkmcnt(0)
	s_barrier
	ds_load_b128 v[0:3], v160 offset:8192
	ds_load_b128 v[4:7], v161 offset:24576
	;; [unrolled: 1-line block ×4, first 2 shown]
	v_dot2acc_f32_f16 v159, v16, v32
	v_dot2acc_f32_f16 v158, v16, v33
	;; [unrolled: 1-line block ×3, first 2 shown]
	v_dual_dot2acc_f32_f16 v129, v16, v35 :: v_dual_dot2acc_f32_f16 v150, v18, v33
	v_dual_dot2acc_f32_f16 v155, v17, v32 :: v_dual_dot2acc_f32_f16 v118, v18, v34
	v_dual_dot2acc_f32_f16 v121, v17, v34 :: v_dual_dot2acc_f32_f16 v146, v19, v33
	v_dual_dot2acc_f32_f16 v120, v17, v35 :: v_dual_dot2acc_f32_f16 v151, v18, v32
	v_dual_dot2acc_f32_f16 v119, v18, v35 :: v_dual_dot2acc_f32_f16 v112, v19, v34
	v_dual_dot2acc_f32_f16 v147, v19, v32 :: v_dual_dot2acc_f32_f16 v156, v16, v25
	v_dual_dot2acc_f32_f16 v111, v19, v35 :: v_dual_dot2acc_f32_f16 v152, v17, v25
	v_dual_dot2acc_f32_f16 v157, v16, v24 :: v_dual_dot2acc_f32_f16 v122, v17, v26
	v_dual_dot2acc_f32_f16 v125, v16, v26 :: v_dual_dot2acc_f32_f16 v148, v18, v25
	v_dual_dot2acc_f32_f16 v124, v16, v27 :: v_dual_dot2acc_f32_f16 v153, v17, v24
	v_dual_dot2acc_f32_f16 v123, v17, v27 :: v_dual_dot2acc_f32_f16 v144, v19, v25
	v_dual_dot2acc_f32_f16 v149, v18, v24 :: v_dual_dot2acc_f32_f16 v114, v19, v26
	v_dual_dot2acc_f32_f16 v117, v18, v26 :: v_dual_dot2acc_f32_f16 v142, v20, v33
	v_dual_dot2acc_f32_f16 v116, v18, v27 :: v_dual_dot2acc_f32_f16 v145, v19, v24
	v_dual_dot2acc_f32_f16 v115, v19, v27 :: v_dual_dot2acc_f32_f16 v96, v20, v34
	v_dual_dot2acc_f32_f16 v143, v20, v32 :: v_dual_dot2acc_f32_f16 v138, v21, v33
	v_dual_dot2acc_f32_f16 v97, v20, v35 :: v_dual_dot2acc_f32_f16 v132, v22, v32
	v_dual_dot2acc_f32_f16 v139, v21, v32 :: v_dual_dot2acc_f32_f16 v104, v22, v35
	v_dual_dot2acc_f32_f16 v103, v21, v34 :: v_dual_dot2acc_f32_f16 v126, v23, v32
	v_dual_dot2acc_f32_f16 v102, v21, v35 :: v_dual_dot2acc_f32_f16 v131, v22, v33
	v_dual_dot2acc_f32_f16 v105, v22, v34 :: v_dual_dot2acc_f32_f16 v140, v20, v25
	v_dual_dot2acc_f32_f16 v133, v23, v33 :: v_dual_dot2acc_f32_f16 v98, v20, v26
	v_dual_dot2acc_f32_f16 v110, v23, v34 :: v_dual_dot2acc_f32_f16 v141, v20, v24
	v_dual_dot2acc_f32_f16 v113, v23, v35 :: v_dual_dot2acc_f32_f16 v136, v21, v25
	v_dual_dot2acc_f32_f16 v99, v20, v27 :: v_dual_dot2acc_f32_f16 v128, v22, v24
	v_dual_dot2acc_f32_f16 v137, v21, v24 :: v_dual_dot2acc_f32_f16 v106, v22, v27
	v_dual_dot2acc_f32_f16 v101, v21, v26 :: v_dual_dot2acc_f32_f16 v134, v23, v24
	v_dual_dot2acc_f32_f16 v100, v21, v27 :: v_dual_dot2acc_f32_f16 v127, v22, v25
	s_waitcnt lgkmcnt(2)
	v_dual_dot2acc_f32_f16 v107, v22, v26 :: v_dual_dot2acc_f32_f16 v158, v0, v5
	v_dual_dot2acc_f32_f16 v135, v23, v25 :: v_dual_dot2acc_f32_f16 v130, v0, v6
	;; [unrolled: 1-line block ×9, first 2 shown]
	ds_load_b128 v[16:19], v161 offset:25088
	s_waitcnt lgkmcnt(2)
	v_dual_dot2acc_f32_f16 v147, v3, v4 :: v_dual_dot2acc_f32_f16 v156, v0, v9
	v_dual_dot2acc_f32_f16 v111, v3, v7 :: v_dual_dot2acc_f32_f16 v152, v1, v9
	;; [unrolled: 1-line block ×7, first 2 shown]
	v_dot2acc_f32_f16 v117, v2, v10
	v_dual_dot2acc_f32_f16 v116, v2, v11 :: v_dual_dot2acc_f32_f16 v145, v3, v8
	v_dot2acc_f32_f16 v115, v3, v11
	ds_load_b128 v[0:3], v160 offset:8704
	s_waitcnt lgkmcnt(2)
	v_dot2acc_f32_f16 v96, v12, v6
	v_dual_dot2acc_f32_f16 v143, v12, v4 :: v_dual_dot2acc_f32_f16 v138, v13, v5
	v_dot2acc_f32_f16 v142, v12, v5
	v_dual_dot2acc_f32_f16 v97, v12, v7 :: v_dual_dot2acc_f32_f16 v132, v14, v4
	v_dual_dot2acc_f32_f16 v139, v13, v4 :: v_dual_dot2acc_f32_f16 v104, v14, v7
	;; [unrolled: 1-line block ×12, first 2 shown]
	s_waitcnt lgkmcnt(0)
	v_dual_dot2acc_f32_f16 v107, v14, v10 :: v_dual_dot2acc_f32_f16 v158, v0, v17
	v_dual_dot2acc_f32_f16 v135, v15, v9 :: v_dual_dot2acc_f32_f16 v130, v0, v18
	ds_load_b128 v[4:7], v161 offset:25344
	v_dual_dot2acc_f32_f16 v108, v15, v10 :: v_dual_dot2acc_f32_f16 v159, v0, v16
	v_dual_dot2acc_f32_f16 v109, v15, v11 :: v_dual_dot2acc_f32_f16 v154, v1, v17
	ds_load_b128 v[8:11], v160 offset:8960
	v_dual_dot2acc_f32_f16 v129, v0, v19 :: v_dual_dot2acc_f32_f16 v150, v2, v17
	v_dual_dot2acc_f32_f16 v155, v1, v16 :: v_dual_dot2acc_f32_f16 v118, v2, v18
	;; [unrolled: 1-line block ×5, first 2 shown]
	ds_load_b128 v[12:15], v161 offset:25600
	v_dot2acc_f32_f16 v147, v3, v16
	v_dot2acc_f32_f16 v111, v3, v19
	ds_load_b128 v[20:23], v160 offset:13568
	s_waitcnt lgkmcnt(3)
	v_dual_dot2acc_f32_f16 v157, v0, v4 :: v_dual_dot2acc_f32_f16 v122, v1, v6
	v_dot2acc_f32_f16 v156, v0, v5
	v_dual_dot2acc_f32_f16 v125, v0, v6 :: v_dual_dot2acc_f32_f16 v148, v2, v5
	v_dual_dot2acc_f32_f16 v124, v0, v7 :: v_dual_dot2acc_f32_f16 v153, v1, v4
	v_dot2acc_f32_f16 v152, v1, v5
	v_dual_dot2acc_f32_f16 v123, v1, v7 :: v_dual_dot2acc_f32_f16 v144, v3, v5
	;; [unrolled: 3-line block ×3, first 2 shown]
	v_dot2acc_f32_f16 v115, v3, v7
	ds_load_b128 v[0:3], v160 offset:9216
	s_waitcnt lgkmcnt(3)
	v_dot2acc_f32_f16 v96, v8, v18
	v_dual_dot2acc_f32_f16 v143, v8, v16 :: v_dual_dot2acc_f32_f16 v138, v9, v17
	v_dot2acc_f32_f16 v142, v8, v17
	v_dual_dot2acc_f32_f16 v97, v8, v19 :: v_dual_dot2acc_f32_f16 v132, v10, v16
	v_dual_dot2acc_f32_f16 v139, v9, v16 :: v_dual_dot2acc_f32_f16 v104, v10, v19
	;; [unrolled: 1-line block ×12, first 2 shown]
	s_waitcnt lgkmcnt(0)
	v_dual_dot2acc_f32_f16 v107, v10, v6 :: v_dual_dot2acc_f32_f16 v158, v0, v13
	v_dual_dot2acc_f32_f16 v135, v11, v5 :: v_dual_dot2acc_f32_f16 v130, v0, v14
	ds_load_b128 v[16:19], v161 offset:25856
	v_dual_dot2acc_f32_f16 v108, v11, v6 :: v_dual_dot2acc_f32_f16 v159, v0, v12
	v_dual_dot2acc_f32_f16 v109, v11, v7 :: v_dual_dot2acc_f32_f16 v154, v1, v13
	ds_load_b128 v[4:7], v160 offset:9472
	v_dual_dot2acc_f32_f16 v129, v0, v15 :: v_dual_dot2acc_f32_f16 v150, v2, v13
	v_dual_dot2acc_f32_f16 v155, v1, v12 :: v_dual_dot2acc_f32_f16 v118, v2, v14
	v_dual_dot2acc_f32_f16 v121, v1, v14 :: v_dual_dot2acc_f32_f16 v146, v3, v13
	v_dual_dot2acc_f32_f16 v120, v1, v15 :: v_dual_dot2acc_f32_f16 v151, v2, v12
	v_dual_dot2acc_f32_f16 v119, v2, v15 :: v_dual_dot2acc_f32_f16 v112, v3, v14
	ds_load_b128 v[8:11], v161 offset:26112
	v_dot2acc_f32_f16 v147, v3, v12
	v_dot2acc_f32_f16 v111, v3, v15
	s_lshl_b32 s14, s40, 1
	s_waitcnt lgkmcnt(2)
	v_dual_dot2acc_f32_f16 v152, v1, v17 :: v_dual_dot2acc_f32_f16 v157, v0, v16
	v_dot2acc_f32_f16 v122, v1, v18
	v_dot2acc_f32_f16 v156, v0, v17
	v_dual_dot2acc_f32_f16 v125, v0, v18 :: v_dual_dot2acc_f32_f16 v148, v2, v17
	v_dual_dot2acc_f32_f16 v124, v0, v19 :: v_dual_dot2acc_f32_f16 v153, v1, v16
	;; [unrolled: 1-line block ×4, first 2 shown]
	v_dot2acc_f32_f16 v117, v2, v18
	v_dual_dot2acc_f32_f16 v116, v2, v19 :: v_dual_dot2acc_f32_f16 v145, v3, v16
	v_dot2acc_f32_f16 v115, v3, v19
	ds_load_b128 v[0:3], v160 offset:9728
	s_waitcnt lgkmcnt(2)
	v_dot2acc_f32_f16 v96, v4, v14
	v_dual_dot2acc_f32_f16 v143, v4, v12 :: v_dual_dot2acc_f32_f16 v138, v5, v13
	v_dot2acc_f32_f16 v142, v4, v13
	v_dual_dot2acc_f32_f16 v97, v4, v15 :: v_dual_dot2acc_f32_f16 v132, v6, v12
	v_dual_dot2acc_f32_f16 v139, v5, v12 :: v_dual_dot2acc_f32_f16 v104, v6, v15
	;; [unrolled: 1-line block ×12, first 2 shown]
	s_waitcnt lgkmcnt(0)
	v_dual_dot2acc_f32_f16 v107, v6, v18 :: v_dual_dot2acc_f32_f16 v158, v0, v9
	v_dual_dot2acc_f32_f16 v135, v7, v17 :: v_dual_dot2acc_f32_f16 v130, v0, v10
	ds_load_b128 v[12:15], v161 offset:26368
	v_dual_dot2acc_f32_f16 v108, v7, v18 :: v_dual_dot2acc_f32_f16 v159, v0, v8
	v_dual_dot2acc_f32_f16 v109, v7, v19 :: v_dual_dot2acc_f32_f16 v154, v1, v9
	ds_load_b128 v[4:7], v160 offset:9984
	v_dual_dot2acc_f32_f16 v129, v0, v11 :: v_dual_dot2acc_f32_f16 v150, v2, v9
	v_dual_dot2acc_f32_f16 v155, v1, v8 :: v_dual_dot2acc_f32_f16 v118, v2, v10
	;; [unrolled: 1-line block ×5, first 2 shown]
	ds_load_b128 v[16:19], v161 offset:26624
	v_dot2acc_f32_f16 v147, v3, v8
	v_dot2acc_f32_f16 v111, v3, v11
	s_mov_b32 s15, 0x31004000
	s_waitcnt lgkmcnt(2)
	v_dual_dot2acc_f32_f16 v152, v1, v13 :: v_dual_dot2acc_f32_f16 v157, v0, v12
	v_dot2acc_f32_f16 v122, v1, v14
	v_dot2acc_f32_f16 v156, v0, v13
	v_dual_dot2acc_f32_f16 v125, v0, v14 :: v_dual_dot2acc_f32_f16 v148, v2, v13
	v_dual_dot2acc_f32_f16 v124, v0, v15 :: v_dual_dot2acc_f32_f16 v153, v1, v12
	;; [unrolled: 1-line block ×4, first 2 shown]
	v_dot2acc_f32_f16 v117, v2, v14
	v_dual_dot2acc_f32_f16 v116, v2, v15 :: v_dual_dot2acc_f32_f16 v145, v3, v12
	v_dot2acc_f32_f16 v115, v3, v15
	ds_load_b128 v[0:3], v160 offset:10240
	s_waitcnt lgkmcnt(2)
	v_dot2acc_f32_f16 v96, v4, v10
	v_dual_dot2acc_f32_f16 v143, v4, v8 :: v_dual_dot2acc_f32_f16 v138, v5, v9
	v_dot2acc_f32_f16 v142, v4, v9
	v_dual_dot2acc_f32_f16 v97, v4, v11 :: v_dual_dot2acc_f32_f16 v132, v6, v8
	v_dual_dot2acc_f32_f16 v139, v5, v8 :: v_dual_dot2acc_f32_f16 v104, v6, v11
	;; [unrolled: 1-line block ×12, first 2 shown]
	s_waitcnt lgkmcnt(0)
	v_dual_dot2acc_f32_f16 v107, v6, v14 :: v_dual_dot2acc_f32_f16 v158, v0, v17
	v_dual_dot2acc_f32_f16 v135, v7, v13 :: v_dual_dot2acc_f32_f16 v130, v0, v18
	ds_load_b128 v[8:11], v161 offset:26880
	v_dual_dot2acc_f32_f16 v108, v7, v14 :: v_dual_dot2acc_f32_f16 v159, v0, v16
	v_dual_dot2acc_f32_f16 v109, v7, v15 :: v_dual_dot2acc_f32_f16 v154, v1, v17
	ds_load_b128 v[4:7], v160 offset:10496
	v_dual_dot2acc_f32_f16 v129, v0, v19 :: v_dual_dot2acc_f32_f16 v150, v2, v17
	v_dual_dot2acc_f32_f16 v155, v1, v16 :: v_dual_dot2acc_f32_f16 v118, v2, v18
	;; [unrolled: 1-line block ×5, first 2 shown]
	ds_load_b128 v[12:15], v161 offset:27136
	v_dot2acc_f32_f16 v147, v3, v16
	v_dot2acc_f32_f16 v111, v3, v19
	s_lshl_b32 s0, s39, 6
	s_waitcnt lgkmcnt(2)
	v_dual_dot2acc_f32_f16 v152, v1, v9 :: v_dual_dot2acc_f32_f16 v157, v0, v8
	v_dot2acc_f32_f16 v122, v1, v10
	v_dot2acc_f32_f16 v156, v0, v9
	v_dual_dot2acc_f32_f16 v125, v0, v10 :: v_dual_dot2acc_f32_f16 v148, v2, v9
	v_dual_dot2acc_f32_f16 v124, v0, v11 :: v_dual_dot2acc_f32_f16 v153, v1, v8
	;; [unrolled: 1-line block ×4, first 2 shown]
	v_dot2acc_f32_f16 v117, v2, v10
	v_dual_dot2acc_f32_f16 v116, v2, v11 :: v_dual_dot2acc_f32_f16 v145, v3, v8
	v_dot2acc_f32_f16 v115, v3, v11
	ds_load_b128 v[0:3], v160 offset:10752
	s_waitcnt lgkmcnt(2)
	v_dot2acc_f32_f16 v96, v4, v18
	v_dual_dot2acc_f32_f16 v143, v4, v16 :: v_dual_dot2acc_f32_f16 v138, v5, v17
	v_dot2acc_f32_f16 v142, v4, v17
	v_dual_dot2acc_f32_f16 v97, v4, v19 :: v_dual_dot2acc_f32_f16 v132, v6, v16
	v_dual_dot2acc_f32_f16 v139, v5, v16 :: v_dual_dot2acc_f32_f16 v104, v6, v19
	;; [unrolled: 1-line block ×12, first 2 shown]
	s_waitcnt lgkmcnt(0)
	v_dual_dot2acc_f32_f16 v107, v6, v10 :: v_dual_dot2acc_f32_f16 v158, v0, v13
	v_dual_dot2acc_f32_f16 v135, v7, v9 :: v_dual_dot2acc_f32_f16 v130, v0, v14
	ds_load_b128 v[16:19], v161 offset:27392
	v_dual_dot2acc_f32_f16 v108, v7, v10 :: v_dual_dot2acc_f32_f16 v159, v0, v12
	v_dual_dot2acc_f32_f16 v109, v7, v11 :: v_dual_dot2acc_f32_f16 v154, v1, v13
	ds_load_b128 v[4:7], v160 offset:11008
	v_dual_dot2acc_f32_f16 v129, v0, v15 :: v_dual_dot2acc_f32_f16 v150, v2, v13
	v_dual_dot2acc_f32_f16 v155, v1, v12 :: v_dual_dot2acc_f32_f16 v118, v2, v14
	;; [unrolled: 1-line block ×5, first 2 shown]
	ds_load_b128 v[8:11], v161 offset:27648
	v_dot2acc_f32_f16 v147, v3, v12
	v_dot2acc_f32_f16 v111, v3, v15
	s_lshl_b32 s10, s36, 1
	s_waitcnt lgkmcnt(2)
	v_dual_dot2acc_f32_f16 v152, v1, v17 :: v_dual_dot2acc_f32_f16 v157, v0, v16
	v_dot2acc_f32_f16 v122, v1, v18
	v_dot2acc_f32_f16 v156, v0, v17
	v_dual_dot2acc_f32_f16 v125, v0, v18 :: v_dual_dot2acc_f32_f16 v148, v2, v17
	v_dual_dot2acc_f32_f16 v124, v0, v19 :: v_dual_dot2acc_f32_f16 v153, v1, v16
	;; [unrolled: 1-line block ×4, first 2 shown]
	v_dot2acc_f32_f16 v117, v2, v18
	v_dual_dot2acc_f32_f16 v116, v2, v19 :: v_dual_dot2acc_f32_f16 v145, v3, v16
	v_dot2acc_f32_f16 v115, v3, v19
	ds_load_b128 v[0:3], v160 offset:11264
	s_waitcnt lgkmcnt(2)
	v_dot2acc_f32_f16 v96, v4, v14
	v_dual_dot2acc_f32_f16 v143, v4, v12 :: v_dual_dot2acc_f32_f16 v138, v5, v13
	v_dot2acc_f32_f16 v142, v4, v13
	v_dual_dot2acc_f32_f16 v97, v4, v15 :: v_dual_dot2acc_f32_f16 v132, v6, v12
	v_dual_dot2acc_f32_f16 v139, v5, v12 :: v_dual_dot2acc_f32_f16 v104, v6, v15
	;; [unrolled: 1-line block ×12, first 2 shown]
	s_waitcnt lgkmcnt(0)
	v_dual_dot2acc_f32_f16 v107, v6, v18 :: v_dual_dot2acc_f32_f16 v158, v0, v9
	v_dual_dot2acc_f32_f16 v135, v7, v17 :: v_dual_dot2acc_f32_f16 v130, v0, v10
	ds_load_b128 v[12:15], v161 offset:27904
	v_dual_dot2acc_f32_f16 v108, v7, v18 :: v_dual_dot2acc_f32_f16 v159, v0, v8
	v_dual_dot2acc_f32_f16 v109, v7, v19 :: v_dual_dot2acc_f32_f16 v154, v1, v9
	ds_load_b128 v[4:7], v160 offset:11520
	v_dual_dot2acc_f32_f16 v129, v0, v11 :: v_dual_dot2acc_f32_f16 v150, v2, v9
	v_dual_dot2acc_f32_f16 v155, v1, v8 :: v_dual_dot2acc_f32_f16 v118, v2, v10
	;; [unrolled: 1-line block ×5, first 2 shown]
	ds_load_b128 v[16:19], v161 offset:28160
	v_dot2acc_f32_f16 v147, v3, v8
	v_dot2acc_f32_f16 v111, v3, v11
	s_mov_b32 s11, s15
	s_waitcnt lgkmcnt(2)
	v_dual_dot2acc_f32_f16 v152, v1, v13 :: v_dual_dot2acc_f32_f16 v157, v0, v12
	v_dot2acc_f32_f16 v122, v1, v14
	v_dot2acc_f32_f16 v156, v0, v13
	v_dual_dot2acc_f32_f16 v125, v0, v14 :: v_dual_dot2acc_f32_f16 v148, v2, v13
	v_dual_dot2acc_f32_f16 v124, v0, v15 :: v_dual_dot2acc_f32_f16 v153, v1, v12
	;; [unrolled: 1-line block ×4, first 2 shown]
	v_dot2acc_f32_f16 v117, v2, v14
	v_dual_dot2acc_f32_f16 v116, v2, v15 :: v_dual_dot2acc_f32_f16 v145, v3, v12
	v_dot2acc_f32_f16 v115, v3, v15
	ds_load_b128 v[0:3], v160 offset:11776
	s_waitcnt lgkmcnt(2)
	v_dot2acc_f32_f16 v96, v4, v10
	v_dual_dot2acc_f32_f16 v143, v4, v8 :: v_dual_dot2acc_f32_f16 v138, v5, v9
	v_dot2acc_f32_f16 v142, v4, v9
	v_dual_dot2acc_f32_f16 v97, v4, v11 :: v_dual_dot2acc_f32_f16 v132, v6, v8
	v_dual_dot2acc_f32_f16 v139, v5, v8 :: v_dual_dot2acc_f32_f16 v104, v6, v11
	;; [unrolled: 1-line block ×12, first 2 shown]
	s_waitcnt lgkmcnt(0)
	v_dual_dot2acc_f32_f16 v107, v6, v14 :: v_dual_dot2acc_f32_f16 v158, v0, v17
	v_dual_dot2acc_f32_f16 v135, v7, v13 :: v_dual_dot2acc_f32_f16 v130, v0, v18
	ds_load_b128 v[8:11], v161 offset:28416
	v_dual_dot2acc_f32_f16 v108, v7, v14 :: v_dual_dot2acc_f32_f16 v159, v0, v16
	v_dual_dot2acc_f32_f16 v109, v7, v15 :: v_dual_dot2acc_f32_f16 v154, v1, v17
	ds_load_b128 v[4:7], v160 offset:12032
	v_dual_dot2acc_f32_f16 v129, v0, v19 :: v_dual_dot2acc_f32_f16 v150, v2, v17
	v_dual_dot2acc_f32_f16 v155, v1, v16 :: v_dual_dot2acc_f32_f16 v118, v2, v18
	;; [unrolled: 1-line block ×5, first 2 shown]
	ds_load_b128 v[12:15], v161 offset:28672
	v_dot2acc_f32_f16 v147, v3, v16
	v_dot2acc_f32_f16 v111, v3, v19
	s_add_i32 s4, s35, s34
	s_waitcnt lgkmcnt(2)
	v_dual_dot2acc_f32_f16 v152, v1, v9 :: v_dual_dot2acc_f32_f16 v157, v0, v8
	v_dot2acc_f32_f16 v122, v1, v10
	v_dot2acc_f32_f16 v156, v0, v9
	v_dual_dot2acc_f32_f16 v125, v0, v10 :: v_dual_dot2acc_f32_f16 v148, v2, v9
	v_dual_dot2acc_f32_f16 v124, v0, v11 :: v_dual_dot2acc_f32_f16 v153, v1, v8
	;; [unrolled: 1-line block ×4, first 2 shown]
	v_dot2acc_f32_f16 v117, v2, v10
	v_dual_dot2acc_f32_f16 v116, v2, v11 :: v_dual_dot2acc_f32_f16 v145, v3, v8
	v_dot2acc_f32_f16 v115, v3, v11
	ds_load_b128 v[0:3], v160 offset:12288
	s_waitcnt lgkmcnt(2)
	v_dot2acc_f32_f16 v96, v4, v18
	v_dual_dot2acc_f32_f16 v143, v4, v16 :: v_dual_dot2acc_f32_f16 v138, v5, v17
	v_dot2acc_f32_f16 v142, v4, v17
	v_dual_dot2acc_f32_f16 v97, v4, v19 :: v_dual_dot2acc_f32_f16 v132, v6, v16
	v_dual_dot2acc_f32_f16 v139, v5, v16 :: v_dual_dot2acc_f32_f16 v104, v6, v19
	v_dual_dot2acc_f32_f16 v103, v5, v18 :: v_dual_dot2acc_f32_f16 v126, v7, v16
	v_dual_dot2acc_f32_f16 v102, v5, v19 :: v_dual_dot2acc_f32_f16 v131, v6, v17
	v_dual_dot2acc_f32_f16 v105, v6, v18 :: v_dual_dot2acc_f32_f16 v140, v4, v9
	v_dual_dot2acc_f32_f16 v133, v7, v17 :: v_dual_dot2acc_f32_f16 v98, v4, v10
	v_dual_dot2acc_f32_f16 v110, v7, v18 :: v_dual_dot2acc_f32_f16 v141, v4, v8
	v_dual_dot2acc_f32_f16 v113, v7, v19 :: v_dual_dot2acc_f32_f16 v136, v5, v9
	v_dual_dot2acc_f32_f16 v99, v4, v11 :: v_dual_dot2acc_f32_f16 v128, v6, v8
	v_dual_dot2acc_f32_f16 v137, v5, v8 :: v_dual_dot2acc_f32_f16 v106, v6, v11
	v_dual_dot2acc_f32_f16 v101, v5, v10 :: v_dual_dot2acc_f32_f16 v134, v7, v8
	v_dual_dot2acc_f32_f16 v100, v5, v11 :: v_dual_dot2acc_f32_f16 v127, v6, v9
	s_waitcnt lgkmcnt(0)
	v_dual_dot2acc_f32_f16 v107, v6, v10 :: v_dual_dot2acc_f32_f16 v158, v0, v13
	v_dual_dot2acc_f32_f16 v135, v7, v9 :: v_dual_dot2acc_f32_f16 v130, v0, v14
	ds_load_b128 v[16:19], v161 offset:28928
	v_dual_dot2acc_f32_f16 v108, v7, v10 :: v_dual_dot2acc_f32_f16 v159, v0, v12
	v_dual_dot2acc_f32_f16 v109, v7, v11 :: v_dual_dot2acc_f32_f16 v154, v1, v13
	ds_load_b128 v[4:7], v160 offset:12544
	v_dual_dot2acc_f32_f16 v129, v0, v15 :: v_dual_dot2acc_f32_f16 v150, v2, v13
	v_dual_dot2acc_f32_f16 v155, v1, v12 :: v_dual_dot2acc_f32_f16 v118, v2, v14
	;; [unrolled: 1-line block ×5, first 2 shown]
	ds_load_b128 v[8:11], v161 offset:29184
	v_dot2acc_f32_f16 v147, v3, v12
	s_waitcnt lgkmcnt(2)
	v_dual_dot2acc_f32_f16 v111, v3, v15 :: v_dual_dot2acc_f32_f16 v152, v1, v17
	v_dual_dot2acc_f32_f16 v157, v0, v16 :: v_dual_dot2acc_f32_f16 v122, v1, v18
	v_dot2acc_f32_f16 v156, v0, v17
	v_dual_dot2acc_f32_f16 v125, v0, v18 :: v_dual_dot2acc_f32_f16 v148, v2, v17
	v_dual_dot2acc_f32_f16 v124, v0, v19 :: v_dual_dot2acc_f32_f16 v153, v1, v16
	;; [unrolled: 1-line block ×4, first 2 shown]
	v_dot2acc_f32_f16 v117, v2, v18
	v_dual_dot2acc_f32_f16 v116, v2, v19 :: v_dual_dot2acc_f32_f16 v145, v3, v16
	v_dot2acc_f32_f16 v115, v3, v19
	ds_load_b128 v[0:3], v160 offset:12800
	s_waitcnt lgkmcnt(2)
	v_dot2acc_f32_f16 v96, v4, v14
	v_dual_dot2acc_f32_f16 v143, v4, v12 :: v_dual_dot2acc_f32_f16 v138, v5, v13
	v_dot2acc_f32_f16 v142, v4, v13
	v_dual_dot2acc_f32_f16 v97, v4, v15 :: v_dual_dot2acc_f32_f16 v132, v6, v12
	v_dual_dot2acc_f32_f16 v139, v5, v12 :: v_dual_dot2acc_f32_f16 v104, v6, v15
	v_dual_dot2acc_f32_f16 v103, v5, v14 :: v_dual_dot2acc_f32_f16 v126, v7, v12
	v_dual_dot2acc_f32_f16 v102, v5, v15 :: v_dual_dot2acc_f32_f16 v131, v6, v13
	v_dual_dot2acc_f32_f16 v105, v6, v14 :: v_dual_dot2acc_f32_f16 v140, v4, v17
	v_dual_dot2acc_f32_f16 v133, v7, v13 :: v_dual_dot2acc_f32_f16 v98, v4, v18
	v_dual_dot2acc_f32_f16 v110, v7, v14 :: v_dual_dot2acc_f32_f16 v141, v4, v16
	v_dual_dot2acc_f32_f16 v113, v7, v15 :: v_dual_dot2acc_f32_f16 v136, v5, v17
	v_dual_dot2acc_f32_f16 v99, v4, v19 :: v_dual_dot2acc_f32_f16 v128, v6, v16
	v_dual_dot2acc_f32_f16 v137, v5, v16 :: v_dual_dot2acc_f32_f16 v106, v6, v19
	v_dual_dot2acc_f32_f16 v101, v5, v18 :: v_dual_dot2acc_f32_f16 v134, v7, v16
	v_dual_dot2acc_f32_f16 v100, v5, v19 :: v_dual_dot2acc_f32_f16 v127, v6, v17
	s_waitcnt lgkmcnt(0)
	v_dual_dot2acc_f32_f16 v107, v6, v18 :: v_dual_dot2acc_f32_f16 v158, v0, v9
	v_dual_dot2acc_f32_f16 v135, v7, v17 :: v_dual_dot2acc_f32_f16 v130, v0, v10
	ds_load_b128 v[12:15], v161 offset:29440
	v_dual_dot2acc_f32_f16 v108, v7, v18 :: v_dual_dot2acc_f32_f16 v159, v0, v8
	v_dual_dot2acc_f32_f16 v109, v7, v19 :: v_dual_dot2acc_f32_f16 v154, v1, v9
	ds_load_b128 v[4:7], v160 offset:13056
	v_dual_dot2acc_f32_f16 v129, v0, v11 :: v_dual_dot2acc_f32_f16 v150, v2, v9
	v_dual_dot2acc_f32_f16 v155, v1, v8 :: v_dual_dot2acc_f32_f16 v118, v2, v10
	;; [unrolled: 1-line block ×5, first 2 shown]
	ds_load_b128 v[16:19], v161 offset:29696
	v_dot2acc_f32_f16 v147, v3, v8
	s_waitcnt lgkmcnt(2)
	v_dual_dot2acc_f32_f16 v111, v3, v11 :: v_dual_dot2acc_f32_f16 v152, v1, v13
	v_dual_dot2acc_f32_f16 v157, v0, v12 :: v_dual_dot2acc_f32_f16 v122, v1, v14
	v_dot2acc_f32_f16 v156, v0, v13
	v_dual_dot2acc_f32_f16 v125, v0, v14 :: v_dual_dot2acc_f32_f16 v148, v2, v13
	v_dual_dot2acc_f32_f16 v124, v0, v15 :: v_dual_dot2acc_f32_f16 v153, v1, v12
	;; [unrolled: 1-line block ×4, first 2 shown]
	v_dot2acc_f32_f16 v117, v2, v14
	v_dual_dot2acc_f32_f16 v116, v2, v15 :: v_dual_dot2acc_f32_f16 v145, v3, v12
	v_dot2acc_f32_f16 v115, v3, v15
	ds_load_b128 v[0:3], v160 offset:13312
	s_waitcnt lgkmcnt(2)
	v_dot2acc_f32_f16 v96, v4, v10
	v_dual_dot2acc_f32_f16 v143, v4, v8 :: v_dual_dot2acc_f32_f16 v138, v5, v9
	v_dot2acc_f32_f16 v142, v4, v9
	v_dual_dot2acc_f32_f16 v97, v4, v11 :: v_dual_dot2acc_f32_f16 v132, v6, v8
	v_dual_dot2acc_f32_f16 v139, v5, v8 :: v_dual_dot2acc_f32_f16 v104, v6, v11
	;; [unrolled: 1-line block ×8, first 2 shown]
	ds_load_b128 v[8:11], v161 offset:29952
	v_dual_dot2acc_f32_f16 v99, v4, v15 :: v_dual_dot2acc_f32_f16 v128, v6, v12
	v_dual_dot2acc_f32_f16 v137, v5, v12 :: v_dual_dot2acc_f32_f16 v106, v6, v15
	;; [unrolled: 1-line block ×4, first 2 shown]
	s_waitcnt lgkmcnt(1)
	v_dual_dot2acc_f32_f16 v107, v6, v14 :: v_dual_dot2acc_f32_f16 v158, v0, v17
	v_dual_dot2acc_f32_f16 v135, v7, v13 :: v_dual_dot2acc_f32_f16 v130, v0, v18
	;; [unrolled: 1-line block ×9, first 2 shown]
	ds_load_b128 v[12:15], v161 offset:30208
	s_waitcnt lgkmcnt(1)
	v_dual_dot2acc_f32_f16 v147, v3, v16 :: v_dual_dot2acc_f32_f16 v156, v0, v9
	v_dual_dot2acc_f32_f16 v111, v3, v19 :: v_dual_dot2acc_f32_f16 v152, v1, v9
	;; [unrolled: 1-line block ×7, first 2 shown]
	v_dot2acc_f32_f16 v117, v2, v10
	v_dual_dot2acc_f32_f16 v116, v2, v11 :: v_dual_dot2acc_f32_f16 v145, v3, v8
	v_dot2acc_f32_f16 v115, v3, v11
	ds_load_b128 v[0:3], v160 offset:13824
	v_dot2acc_f32_f16 v96, v20, v18
	v_dual_dot2acc_f32_f16 v143, v20, v16 :: v_dual_dot2acc_f32_f16 v138, v21, v17
	v_dual_dot2acc_f32_f16 v97, v20, v19 :: v_dual_dot2acc_f32_f16 v132, v22, v16
	;; [unrolled: 1-line block ×4, first 2 shown]
	v_lshl_add_u32 v16, s46, 7, v163
	v_dual_dot2acc_f32_f16 v105, v22, v18 :: v_dual_dot2acc_f32_f16 v140, v20, v9
	v_dual_dot2acc_f32_f16 v133, v23, v17 :: v_dual_dot2acc_f32_f16 v98, v20, v10
	;; [unrolled: 1-line block ×8, first 2 shown]
	s_waitcnt lgkmcnt(0)
	v_dual_dot2acc_f32_f16 v107, v22, v10 :: v_dual_dot2acc_f32_f16 v158, v0, v13
	v_dual_dot2acc_f32_f16 v135, v23, v9 :: v_dual_dot2acc_f32_f16 v130, v0, v14
	ds_load_b128 v[4:7], v161 offset:30464
	v_dual_dot2acc_f32_f16 v108, v23, v10 :: v_dual_dot2acc_f32_f16 v159, v0, v12
	v_dual_dot2acc_f32_f16 v109, v23, v11 :: v_dual_dot2acc_f32_f16 v154, v1, v13
	ds_load_b128 v[8:11], v160 offset:14080
	v_mul_lo_u32 v18, v16, s38
	v_dot2acc_f32_f16 v142, v20, v17
	v_dual_dot2acc_f32_f16 v102, v21, v19 :: v_dual_dot2acc_f32_f16 v131, v22, v17
	v_lshl_add_u32 v17, s47, 7, v162
	v_dual_dot2acc_f32_f16 v129, v0, v15 :: v_dual_dot2acc_f32_f16 v150, v2, v13
	v_dual_dot2acc_f32_f16 v155, v1, v12 :: v_dual_dot2acc_f32_f16 v118, v2, v14
	s_delay_alu instid0(VALU_DEP_3)
	v_mad_u64_u32 v[19:20], null, v17, s39, v[18:19]
	v_dual_dot2acc_f32_f16 v121, v1, v14 :: v_dual_dot2acc_f32_f16 v146, v3, v13
	v_dual_dot2acc_f32_f16 v120, v1, v15 :: v_dual_dot2acc_f32_f16 v151, v2, v12
	v_dual_dot2acc_f32_f16 v119, v2, v15 :: v_dual_dot2acc_f32_f16 v112, v3, v14
	s_waitcnt lgkmcnt(1)
	v_dual_dot2acc_f32_f16 v147, v3, v12 :: v_dual_dot2acc_f32_f16 v156, v0, v5
	v_dual_dot2acc_f32_f16 v111, v3, v15 :: v_dual_dot2acc_f32_f16 v152, v1, v5
	;; [unrolled: 1-line block ×7, first 2 shown]
	v_dot2acc_f32_f16 v117, v2, v6
	v_dual_dot2acc_f32_f16 v116, v2, v7 :: v_dual_dot2acc_f32_f16 v145, v3, v4
	v_dot2acc_f32_f16 v115, v3, v7
	ds_load_b128 v[0:3], v160 offset:14336
	s_waitcnt lgkmcnt(1)
	v_dot2acc_f32_f16 v96, v8, v14
	v_dual_dot2acc_f32_f16 v143, v8, v12 :: v_dual_dot2acc_f32_f16 v138, v9, v13
	v_dot2acc_f32_f16 v142, v8, v13
	v_dual_dot2acc_f32_f16 v97, v8, v15 :: v_dual_dot2acc_f32_f16 v132, v10, v12
	v_dual_dot2acc_f32_f16 v105, v10, v14 :: v_dual_dot2acc_f32_f16 v140, v8, v5
	;; [unrolled: 1-line block ×5, first 2 shown]
	v_dual_dot2acc_f32_f16 v137, v9, v4 :: v_dual_lshlrev_b32 v8, 1, v19
	v_dual_dot2acc_f32_f16 v139, v9, v12 :: v_dual_dot2acc_f32_f16 v104, v10, v15
	v_dual_dot2acc_f32_f16 v103, v9, v14 :: v_dual_dot2acc_f32_f16 v126, v11, v12
	v_dual_dot2acc_f32_f16 v102, v9, v15 :: v_dual_dot2acc_f32_f16 v131, v10, v13
	v_dual_dot2acc_f32_f16 v113, v11, v15 :: v_dual_dot2acc_f32_f16 v136, v9, v5
	ds_load_b128 v[12:15], v161 offset:30720
	buffer_load_b64 v[22:23], v8, s[12:15], 0 offen
	v_add_lshl_u32 v8, v19, s0, 1
	v_dual_dot2acc_f32_f16 v135, v11, v5 :: v_dual_add_nc_u32 v18, s38, v19
	v_dual_dot2acc_f32_f16 v101, v9, v6 :: v_dual_dot2acc_f32_f16 v106, v10, v7
	buffer_load_b64 v[24:25], v8, s[12:15], 0 offen
	v_dual_dot2acc_f32_f16 v100, v9, v7 :: v_dual_dot2acc_f32_f16 v127, v10, v5
	v_lshlrev_b32_e32 v19, 1, v18
	v_dual_dot2acc_f32_f16 v107, v10, v6 :: v_dual_dot2acc_f32_f16 v134, v11, v4
	v_dot2acc_f32_f16 v108, v11, v6
	v_dot2acc_f32_f16 v109, v11, v7
	ds_load_b128 v[4:7], v161 offset:30976
	ds_load_b128 v[8:11], v160 offset:14592
	v_cmp_gt_i32_e32 vcc_lo, s33, v17
	s_waitcnt lgkmcnt(2)
	v_dot2acc_f32_f16 v158, v0, v13
	v_dot2acc_f32_f16 v154, v1, v13
	buffer_load_b64 v[26:27], v19, s[12:15], 0 offen
	v_add_lshl_u32 v19, v18, s0, 1
	v_dual_dot2acc_f32_f16 v119, v2, v15 :: v_dual_add_nc_u32 v18, s38, v18
	v_dot2acc_f32_f16 v159, v0, v12
	v_dual_dot2acc_f32_f16 v130, v0, v14 :: v_dual_dot2acc_f32_f16 v155, v1, v12
	buffer_load_b64 v[28:29], v19, s[12:15], 0 offen
	v_lshlrev_b32_e32 v19, 1, v18
	v_dual_dot2acc_f32_f16 v129, v0, v15 :: v_dual_dot2acc_f32_f16 v150, v2, v13
	s_waitcnt lgkmcnt(1)
	v_dual_dot2acc_f32_f16 v112, v3, v14 :: v_dual_dot2acc_f32_f16 v157, v0, v4
	v_dual_dot2acc_f32_f16 v111, v3, v15 :: v_dual_dot2acc_f32_f16 v156, v0, v5
	;; [unrolled: 1-line block ×3, first 2 shown]
	v_dot2acc_f32_f16 v124, v0, v7
	v_add_lshl_u32 v0, v18, s0, 1
	buffer_load_b64 v[30:31], v19, s[12:15], 0 offen
	v_dual_dot2acc_f32_f16 v115, v3, v7 :: v_dual_add_nc_u32 v18, s38, v18
	s_waitcnt lgkmcnt(0)
	v_dot2acc_f32_f16 v138, v9, v13
	buffer_load_b64 v[32:33], v0, s[12:15], 0 offen
	v_dual_dot2acc_f32_f16 v117, v2, v6 :: v_dual_dot2acc_f32_f16 v142, v8, v13
	v_lshlrev_b32_e32 v19, 1, v18
	v_dual_dot2acc_f32_f16 v114, v3, v6 :: v_dual_dot2acc_f32_f16 v143, v8, v12
	v_dual_dot2acc_f32_f16 v96, v8, v14 :: v_dual_dot2acc_f32_f16 v139, v9, v12
	buffer_load_b64 v[34:35], v19, s[12:15], 0 offen
	v_add_lshl_u32 v19, v18, s0, 1
	v_dual_dot2acc_f32_f16 v97, v8, v15 :: v_dual_dot2acc_f32_f16 v132, v10, v12
	v_dual_dot2acc_f32_f16 v110, v11, v14 :: v_dual_dot2acc_f32_f16 v141, v8, v4
	buffer_load_b64 v[36:37], v19, s[12:15], 0 offen
	v_mad_u64_u32 v[19:20], null, s38, 61, v[18:19]
	v_dot2acc_f32_f16 v133, v11, v13
	v_dual_dot2acc_f32_f16 v113, v11, v15 :: v_dual_dot2acc_f32_f16 v140, v8, v5
	v_dual_dot2acc_f32_f16 v98, v8, v6 :: v_dual_dot2acc_f32_f16 v137, v9, v4
	v_dual_dot2acc_f32_f16 v99, v8, v7 :: v_dual_dot2acc_f32_f16 v136, v9, v5
	v_lshlrev_b32_e32 v18, 1, v19
	v_add_lshl_u32 v8, v19, s0, 1
	v_dual_dot2acc_f32_f16 v121, v1, v14 :: v_dual_dot2acc_f32_f16 v146, v3, v13
	v_dual_dot2acc_f32_f16 v120, v1, v15 :: v_dual_dot2acc_f32_f16 v151, v2, v12
	s_clause 0x1
	buffer_load_b64 v[38:39], v18, s[12:15], 0 offen
	buffer_load_b64 v[40:41], v8, s[12:15], 0 offen
	v_dual_dot2acc_f32_f16 v118, v2, v14 :: v_dual_dot2acc_f32_f16 v147, v3, v12
	v_dual_dot2acc_f32_f16 v153, v1, v4 :: v_dual_dot2acc_f32_f16 v148, v2, v5
	v_dual_dot2acc_f32_f16 v122, v1, v6 :: v_dual_dot2acc_f32_f16 v149, v2, v4
	v_dual_dot2acc_f32_f16 v123, v1, v7 :: v_dual_dot2acc_f32_f16 v144, v3, v5
	v_dual_dot2acc_f32_f16 v116, v2, v7 :: v_dual_dot2acc_f32_f16 v145, v3, v4
	ds_load_b128 v[0:3], v160 offset:14848
	v_dual_dot2acc_f32_f16 v103, v9, v14 :: v_dual_dot2acc_f32_f16 v104, v10, v15
	v_dual_dot2acc_f32_f16 v102, v9, v15 :: v_dual_dot2acc_f32_f16 v131, v10, v13
	;; [unrolled: 1-line block ×3, first 2 shown]
	ds_load_b128 v[12:15], v161 offset:31232
	v_dual_dot2acc_f32_f16 v101, v9, v6 :: v_dual_dot2acc_f32_f16 v128, v10, v4
	v_dual_dot2acc_f32_f16 v100, v9, v7 :: v_dual_dot2acc_f32_f16 v127, v10, v5
	;; [unrolled: 1-line block ×4, first 2 shown]
	v_dot2acc_f32_f16 v108, v11, v6
	v_dot2acc_f32_f16 v109, v11, v7
	ds_load_b128 v[4:7], v161 offset:31488
	ds_load_b128 v[8:11], v160 offset:15104
	s_waitcnt lgkmcnt(2)
	v_dual_dot2acc_f32_f16 v159, v0, v12 :: v_dual_add_nc_u32 v18, s38, v19
	s_delay_alu instid0(VALU_DEP_1)
	v_dual_dot2acc_f32_f16 v154, v1, v13 :: v_dual_lshlrev_b32 v19, 1, v18
	v_dual_dot2acc_f32_f16 v119, v2, v15 :: v_dual_dot2acc_f32_f16 v146, v3, v13
	v_dot2acc_f32_f16 v158, v0, v13
	buffer_load_b64 v[42:43], v19, s[12:15], 0 offen
	v_add_lshl_u32 v19, v18, s0, 1
	v_add_nc_u32_e32 v18, s38, v18
	v_dual_dot2acc_f32_f16 v130, v0, v14 :: v_dual_dot2acc_f32_f16 v155, v1, v12
	v_dot2acc_f32_f16 v129, v0, v15
	buffer_load_b64 v[44:45], v19, s[12:15], 0 offen
	v_lshlrev_b32_e32 v19, 1, v18
	s_waitcnt lgkmcnt(1)
	v_dual_dot2acc_f32_f16 v112, v3, v14 :: v_dual_dot2acc_f32_f16 v157, v0, v4
	v_dual_dot2acc_f32_f16 v111, v3, v15 :: v_dual_dot2acc_f32_f16 v156, v0, v5
	buffer_load_b64 v[46:47], v19, s[12:15], 0 offen
	v_dual_dot2acc_f32_f16 v125, v0, v6 :: v_dual_dot2acc_f32_f16 v152, v1, v5
	v_dual_dot2acc_f32_f16 v124, v0, v7 :: v_dual_dot2acc_f32_f16 v153, v1, v4
	v_add_lshl_u32 v0, v18, s0, 1
	v_dual_dot2acc_f32_f16 v115, v3, v7 :: v_dual_add_nc_u32 v18, s38, v18
	s_waitcnt lgkmcnt(0)
	v_dual_dot2acc_f32_f16 v142, v8, v13 :: v_dual_dot2acc_f32_f16 v121, v1, v14
	v_dot2acc_f32_f16 v150, v2, v13
	buffer_load_b64 v[48:49], v0, s[12:15], 0 offen
	v_lshlrev_b32_e32 v19, 1, v18
	v_add_lshl_u32 v18, v18, s0, 1
	v_dual_dot2acc_f32_f16 v120, v1, v15 :: v_dual_dot2acc_f32_f16 v151, v2, v12
	v_dual_dot2acc_f32_f16 v118, v2, v14 :: v_dual_dot2acc_f32_f16 v147, v3, v12
	s_clause 0x1
	buffer_load_b64 v[50:51], v19, s[12:15], 0 offen
	buffer_load_b64 v[52:53], v18, s[12:15], 0 offen
	v_dual_dot2acc_f32_f16 v122, v1, v6 :: v_dual_dot2acc_f32_f16 v149, v2, v4
	v_dual_dot2acc_f32_f16 v123, v1, v7 :: v_dual_dot2acc_f32_f16 v148, v2, v5
	;; [unrolled: 1-line block ×5, first 2 shown]
	ds_load_b128 v[0:3], v160 offset:15360
	v_dual_dot2acc_f32_f16 v96, v8, v14 :: v_dual_dot2acc_f32_f16 v139, v9, v12
	v_dual_dot2acc_f32_f16 v97, v8, v15 :: v_dual_dot2acc_f32_f16 v138, v9, v13
	;; [unrolled: 1-line block ×7, first 2 shown]
	ds_load_b128 v[18:21], v161 offset:31744
	v_dual_dot2acc_f32_f16 v113, v11, v15 :: v_dual_dot2acc_f32_f16 v140, v8, v5
	v_dual_dot2acc_f32_f16 v98, v8, v6 :: v_dual_dot2acc_f32_f16 v137, v9, v4
	;; [unrolled: 1-line block ×7, first 2 shown]
	ds_load_b128 v[12:15], v161 offset:32000
	v_dot2acc_f32_f16 v108, v11, v6
	v_dot2acc_f32_f16 v109, v11, v7
	ds_load_b128 v[4:7], v160 offset:15616
	ds_load_b128 v[8:11], v161 offset:32256
	s_waitcnt lgkmcnt(3)
	v_dual_dot2acc_f32_f16 v159, v0, v18 :: v_dual_dot2acc_f32_f16 v154, v1, v19
	v_dual_dot2acc_f32_f16 v158, v0, v19 :: v_dual_dot2acc_f32_f16 v155, v1, v18
	v_dot2acc_f32_f16 v130, v0, v20
	v_dot2acc_f32_f16 v129, v0, v21
	v_dual_dot2acc_f32_f16 v121, v1, v20 :: v_dual_dot2acc_f32_f16 v150, v2, v19
	v_dual_dot2acc_f32_f16 v120, v1, v21 :: v_dual_dot2acc_f32_f16 v151, v2, v18
	;; [unrolled: 1-line block ×4, first 2 shown]
	s_waitcnt lgkmcnt(2)
	v_dual_dot2acc_f32_f16 v112, v3, v20 :: v_dual_dot2acc_f32_f16 v125, v0, v14
	v_dual_dot2acc_f32_f16 v111, v3, v21 :: v_dual_dot2acc_f32_f16 v124, v0, v15
	;; [unrolled: 1-line block ×8, first 2 shown]
	s_waitcnt lgkmcnt(1)
	v_dual_dot2acc_f32_f16 v114, v3, v14 :: v_dual_dot2acc_f32_f16 v97, v4, v21
	v_dual_dot2acc_f32_f16 v115, v3, v15 :: v_dual_dot2acc_f32_f16 v96, v4, v20
	ds_load_b128 v[0:3], v160 offset:15872
	v_dual_dot2acc_f32_f16 v143, v4, v18 :: v_dual_dot2acc_f32_f16 v138, v5, v19
	v_dual_dot2acc_f32_f16 v142, v4, v19 :: v_dual_dot2acc_f32_f16 v139, v5, v18
	;; [unrolled: 1-line block ×14, first 2 shown]
	ds_load_b128 v[18:21], v161 offset:32512
	v_dot2acc_f32_f16 v108, v7, v14
	v_dot2acc_f32_f16 v109, v7, v15
	ds_load_b128 v[4:7], v160 offset:16128
	s_waitcnt lgkmcnt(2)
	v_dot2acc_f32_f16 v158, v0, v9
	v_add_nc_u32_e32 v54, 64, v17
	v_cmp_gt_i32_e64 s0, s19, v16
	v_dot2acc_f32_f16 v159, v0, v8
	v_dual_dot2acc_f32_f16 v130, v0, v10 :: v_dual_dot2acc_f32_f16 v155, v1, v8
	v_dual_dot2acc_f32_f16 v129, v0, v11 :: v_dual_dot2acc_f32_f16 v154, v1, v9
	s_delay_alu instid0(VALU_DEP_4)
	s_and_b32 s1, s0, vcc_lo
	v_dot2acc_f32_f16 v112, v3, v10
	v_dot2acc_f32_f16 v111, v3, v11
	v_dual_dot2acc_f32_f16 v121, v1, v10 :: v_dual_dot2acc_f32_f16 v150, v2, v9
	v_dual_dot2acc_f32_f16 v120, v1, v11 :: v_dual_dot2acc_f32_f16 v151, v2, v8
	;; [unrolled: 1-line block ×3, first 2 shown]
	s_waitcnt lgkmcnt(1)
	v_dual_dot2acc_f32_f16 v157, v0, v18 :: v_dual_dot2acc_f32_f16 v152, v1, v19
	s_waitcnt lgkmcnt(0)
	v_dot2acc_f32_f16 v107, v6, v20
	v_cmp_gt_i32_e64 s2, s33, v54
	v_dual_dot2acc_f32_f16 v156, v0, v19 :: v_dual_dot2acc_f32_f16 v153, v1, v18
	v_dot2acc_f32_f16 v125, v0, v20
	v_dot2acc_f32_f16 v124, v0, v21
	s_delay_alu instid0(VALU_DEP_4)
	s_and_b32 s0, s0, s2
	v_dual_dot2acc_f32_f16 v119, v2, v11 :: v_dual_dot2acc_f32_f16 v146, v3, v9
	v_dual_dot2acc_f32_f16 v122, v1, v20 :: v_dual_dot2acc_f32_f16 v149, v2, v18
	;; [unrolled: 1-line block ×16, first 2 shown]
	s_waitcnt vmcnt(15)
	v_cndmask_b32_e64 v0, 0, v22, s1
	v_or_b32_e32 v22, 1, v16
	v_cndmask_b32_e64 v15, 0, v23, s1
	v_dual_dot2acc_f32_f16 v103, v5, v10 :: v_dual_dot2acc_f32_f16 v132, v6, v8
	s_waitcnt vmcnt(14)
	v_cndmask_b32_e64 v2, 0, v24, s0
	v_lshrrev_b32_e32 v1, 16, v0
	v_cvt_f32_f16_e32 v0, v0
	v_dual_dot2acc_f32_f16 v102, v5, v11 :: v_dual_dot2acc_f32_f16 v131, v6, v9
	s_delay_alu instid0(VALU_DEP_4)
	v_cvt_f32_f16_e32 v3, v2
	v_dot2acc_f32_f16 v108, v7, v20
	v_cndmask_b32_e64 v20, 0, v25, s0
	v_cmp_gt_i32_e64 s0, s19, v22
	v_cvt_f32_f16_e32 v1, v1
	v_add_f32_e32 v3, v157, v3
	v_lshrrev_b32_e32 v2, 16, v2
	v_dot2acc_f32_f16 v134, v7, v18
	s_and_b32 s1, s0, vcc_lo
	v_dual_add_f32 v1, v158, v1 :: v_dual_add_f32 v0, v159, v0
	v_max_f32_e32 v25, 0, v3
	v_cvt_f32_f16_e32 v2, v2
	s_waitcnt vmcnt(13)
	v_cndmask_b32_e64 v4, 0, v26, s1
	s_and_b32 s0, s0, s2
	v_dot2acc_f32_f16 v109, v7, v21
	v_cndmask_b32_e64 v21, 0, v27, s1
	v_dual_max_f32 v23, 0, v0 :: v_dual_max_f32 v24, 0, v1
	v_add_f32_e32 v0, v156, v2
	v_lshrrev_b32_e32 v1, 16, v4
	s_waitcnt vmcnt(12)
	v_cndmask_b32_e64 v2, 0, v28, s0
	v_or_b32_e32 v27, 2, v16
	v_cndmask_b32_e64 v26, 0, v29, s0
	v_dual_dot2acc_f32_f16 v105, v6, v10 :: v_dual_dot2acc_f32_f16 v126, v7, v8
	v_cvt_f32_f16_e32 v1, v1
	v_max_f32_e32 v28, 0, v0
	v_cvt_f32_f16_e32 v0, v4
	v_cvt_f32_f16_e32 v3, v2
	v_cmp_gt_i32_e64 s0, s19, v27
	v_add_f32_e32 v1, v154, v1
	v_lshrrev_b32_e32 v2, 16, v2
	s_delay_alu instid0(VALU_DEP_4) | instskip(NEXT) | instid1(VALU_DEP_4)
	v_dual_add_f32 v0, v155, v0 :: v_dual_add_f32 v3, v153, v3
	s_and_b32 s1, s0, vcc_lo
	s_and_b32 s0, s0, s2
	s_delay_alu instid0(VALU_DEP_2)
	v_cvt_f32_f16_e32 v2, v2
	s_waitcnt vmcnt(11)
	v_cndmask_b32_e64 v4, 0, v30, s1
	v_dual_max_f32 v30, 0, v0 :: v_dual_max_f32 v55, 0, v3
	v_cndmask_b32_e64 v29, 0, v31, s1
	v_add_f32_e32 v0, v152, v2
	s_waitcnt vmcnt(10)
	v_cndmask_b32_e64 v2, 0, v32, s0
	v_or_b32_e32 v32, 3, v16
	v_max_f32_e32 v31, 0, v1
	v_lshrrev_b32_e32 v1, 16, v4
	v_cndmask_b32_e64 v33, 0, v33, s0
	v_cvt_f32_f16_e32 v3, v2
	v_cmp_gt_i32_e64 s0, s19, v32
	v_lshrrev_b32_e32 v2, 16, v2
	v_cvt_f32_f16_e32 v1, v1
	v_max_f32_e32 v56, 0, v0
	v_cvt_f32_f16_e32 v0, v4
	s_and_b32 s1, s0, vcc_lo
	v_add_f32_e32 v3, v149, v3
	v_add_f32_e32 v1, v150, v1
	v_cvt_f32_f16_e32 v2, v2
	v_add_f32_e32 v0, v151, v0
	s_waitcnt vmcnt(9)
	v_cndmask_b32_e64 v4, 0, v34, s1
	v_dual_max_f32 v58, 0, v3 :: v_dual_max_f32 v57, 0, v1
	s_delay_alu instid0(VALU_DEP_3) | instskip(NEXT) | instid1(VALU_DEP_3)
	v_dual_add_f32 v1, v148, v2 :: v_dual_max_f32 v34, 0, v0
	v_lshrrev_b32_e32 v2, 16, v4
	s_and_b32 s0, s0, s2
	v_cndmask_b32_e64 v35, 0, v35, s1
	s_waitcnt vmcnt(8)
	v_cndmask_b32_e64 v3, 0, v36, s0
	v_cndmask_b32_e64 v37, 0, v37, s0
	v_cvt_f32_f16_e32 v2, v2
	v_dual_dot2acc_f32_f16 v104, v6, v11 :: v_dual_dot2acc_f32_f16 v133, v7, v9
	v_add_nc_u32_e32 v10, 0x42, v16
	s_delay_alu instid0(VALU_DEP_3)
	v_add_f32_e32 v2, v146, v2
	v_max_f32_e32 v36, 0, v1
	v_cvt_f32_f16_e32 v1, v4
	v_add_nc_u32_e32 v0, 64, v16
	v_cvt_f32_f16_e32 v4, v3
	v_lshrrev_b32_e32 v3, 16, v3
	s_delay_alu instid0(VALU_DEP_4) | instskip(NEXT) | instid1(VALU_DEP_4)
	v_add_f32_e32 v5, v147, v1
	v_cmp_gt_i32_e64 s0, s19, v0
	s_delay_alu instid0(VALU_DEP_4) | instskip(NEXT) | instid1(VALU_DEP_4)
	v_add_f32_e32 v4, v145, v4
	v_cvt_f32_f16_e32 v3, v3
	s_delay_alu instid0(VALU_DEP_3)
	s_and_b32 s1, s0, vcc_lo
	s_and_b32 s0, s0, s2
	s_waitcnt vmcnt(7)
	v_cndmask_b32_e64 v1, 0, v39, s1
	v_cndmask_b32_e64 v6, 0, v38, s1
	v_max_f32_e32 v59, 0, v4
	v_dual_max_f32 v39, 0, v2 :: v_dual_add_f32 v2, v144, v3
	s_waitcnt vmcnt(6)
	v_cndmask_b32_e64 v7, 0, v40, s0
	v_lshrrev_b32_e32 v3, 16, v6
	s_delay_alu instid0(VALU_DEP_3) | instskip(SKIP_1) | instid1(VALU_DEP_4)
	v_max_f32_e32 v40, 0, v2
	v_cvt_f32_f16_e32 v2, v6
	v_cvt_f32_f16_e32 v6, v7
	v_lshrrev_b32_e32 v7, 16, v7
	v_cvt_f32_f16_e32 v3, v3
	s_delay_alu instid0(VALU_DEP_4) | instskip(NEXT) | instid1(VALU_DEP_3)
	v_add_f32_e32 v2, v143, v2
	v_cvt_f32_f16_e32 v7, v7
	v_max_f32_e32 v38, 0, v5
	v_cndmask_b32_e64 v5, 0, v41, s0
	s_delay_alu instid0(VALU_DEP_3) | instskip(NEXT) | instid1(VALU_DEP_1)
	v_dual_add_f32 v7, v140, v7 :: v_dual_add_nc_u32 v4, 0x41, v16
	v_max_f32_e32 v7, 0, v7
	s_delay_alu instid0(VALU_DEP_2) | instskip(NEXT) | instid1(VALU_DEP_2)
	v_cmp_gt_i32_e64 s0, s19, v4
	v_cvt_f16_f32_e32 v7, v7
	s_delay_alu instid0(VALU_DEP_2)
	s_and_b32 s1, s0, vcc_lo
	s_and_b32 s0, s0, s2
	s_waitcnt vmcnt(5)
	v_cndmask_b32_e64 v9, 0, v42, s1
	s_waitcnt vmcnt(4)
	v_cndmask_b32_e64 v12, 0, v44, s0
	v_cndmask_b32_e64 v13, 0, v43, s1
	v_add_nc_u32_e32 v44, 0x43, v16
	v_lshrrev_b32_e32 v11, 16, v9
	s_delay_alu instid0(VALU_DEP_4) | instskip(SKIP_2) | instid1(VALU_DEP_4)
	v_cvt_f32_f16_e32 v14, v12
	v_lshrrev_b32_e32 v12, 16, v12
	v_cvt_f32_f16_e32 v9, v9
	v_cvt_f32_f16_e32 v11, v11
	s_delay_alu instid0(VALU_DEP_4)
	v_add_f32_e32 v14, v137, v14
	v_add_f32_e32 v8, v142, v3
	v_cvt_f32_f16_e32 v19, v12
	v_max_f32_e32 v3, 0, v2
	v_add_f32_e32 v11, v138, v11
	v_add_f32_e32 v9, v139, v9
	s_delay_alu instid0(VALU_DEP_3) | instskip(NEXT) | instid1(VALU_DEP_3)
	v_cvt_f16_f32_e32 v3, v3
	v_dual_max_f32 v12, 0, v11 :: v_dual_max_f32 v11, 0, v14
	v_add_f32_e32 v14, v136, v19
	v_max_f32_e32 v2, 0, v8
	v_cndmask_b32_e64 v8, 0, v45, s0
	v_cmp_gt_i32_e64 s0, s19, v10
	v_max_f32_e32 v42, 0, v9
	v_cvt_f16_f32_e32 v11, v11
	s_delay_alu instid0(VALU_DEP_3)
	s_and_b32 s1, s0, vcc_lo
	s_and_b32 s0, s0, s2
	s_waitcnt vmcnt(3)
	v_cndmask_b32_e64 v18, 0, v46, s1
	s_waitcnt vmcnt(2)
	v_cndmask_b32_e64 v43, 0, v49, s0
	v_cndmask_b32_e64 v19, 0, v48, s0
	v_cmp_gt_i32_e64 s0, s19, v44
	v_cndmask_b32_e64 v41, 0, v47, s1
	v_lshrrev_b32_e32 v9, 16, v18
	v_cvt_f32_f16_e32 v18, v18
	v_cmp_gt_i32_e64 s1, s16, v16
	s_and_b32 vcc_lo, s0, vcc_lo
	s_and_b32 s0, s0, s2
	v_cvt_f32_f16_e32 v9, v9
	v_add_f32_e32 v18, v132, v18
	v_add_f32_e32 v6, v141, v6
	s_waitcnt vmcnt(0)
	v_cndmask_b32_e64 v49, 0, v52, s0
	v_cndmask_b32_e32 v47, 0, v51, vcc_lo
	v_add_f32_e32 v45, v131, v9
	v_max_f32_e32 v9, 0, v14
	v_cvt_f32_f16_e32 v14, v19
	v_max_f32_e32 v46, 0, v18
	v_lshrrev_b32_e32 v18, 16, v19
	v_cndmask_b32_e32 v19, 0, v50, vcc_lo
	v_max_f32_e32 v6, 0, v6
	v_add_f32_e32 v14, v128, v14
	v_cndmask_b32_e64 v48, 0, v53, s0
	v_cvt_f32_f16_e32 v18, v18
	v_cvt_f32_f16_e32 v50, v19
	v_lshrrev_b32_e32 v19, 16, v19
	v_max_f32_e32 v51, 0, v14
	v_lshrrev_b32_e32 v14, 16, v49
	v_add_f32_e32 v18, v127, v18
	v_add_f32_e32 v50, v126, v50
	v_cmp_gt_i32_e32 vcc_lo, s23, v17
	s_lshl_b32 s2, s35, 6
	v_cvt_f32_f16_e32 v14, v14
	v_max_f32_e32 v52, 0, v18
	v_cvt_f32_f16_e32 v18, v19
	v_cvt_f32_f16_e32 v19, v49
	v_max_f32_e32 v49, 0, v50
	v_lshrrev_b32_e32 v50, 16, v15
	v_cvt_f32_f16_e32 v15, v15
	v_add_f32_e32 v53, v135, v14
	v_mul_lo_u32 v14, v16, s34
	v_add_f32_e32 v18, v133, v18
	v_cvt_f32_f16_e32 v50, v50
	v_add_f32_e32 v19, v134, v19
	v_add_f32_e32 v15, v130, v15
	v_cvt_f16_f32_e32 v16, v24
	v_cvt_f32_f16_e32 v24, v26
	v_add_f32_e32 v50, v129, v50
	v_dual_max_f32 v60, 0, v18 :: v_dual_max_f32 v61, 0, v19
	v_mad_u64_u32 v[18:19], null, v17, s35, v[14:15]
	s_delay_alu instid0(VALU_DEP_3)
	v_max_f32_e32 v19, 0, v50
	v_max_f32_e32 v15, 0, v15
	v_cvt_f16_f32_e32 v14, v23
	s_and_b32 s0, s1, vcc_lo
	v_max_f32_e32 v53, 0, v53
	v_cvt_f16_f32_e32 v17, v19
	v_cvt_f16_f32_e32 v15, v15
	v_lshrrev_b32_e32 v19, 16, v20
	v_pack_b32_f16 v14, v14, v16
	v_cndmask_b32_e64 v16, 0x80000000, 0, s0
	v_cmp_gt_i32_e64 s0, s23, v54
	v_pack_b32_f16 v15, v15, v17
	v_cvt_f32_f16_e32 v17, v19
	v_cvt_f32_f16_e32 v19, v20
	v_lshl_add_u32 v16, v18, 1, v16
	s_and_b32 s1, s1, s0
	v_cvt_f16_f32_e32 v20, v28
	v_add_f32_e32 v17, v124, v17
	v_add_f32_e32 v19, v125, v19
	buffer_store_b64 v[14:15], v16, s[8:11], 0 offen
	v_cvt_f16_f32_e32 v14, v25
	v_cndmask_b32_e64 v23, 0x80000000, 0, s1
	v_max_f32_e32 v15, 0, v17
	v_lshrrev_b32_e32 v17, 16, v26
	v_max_f32_e32 v19, 0, v19
	v_pack_b32_f16 v14, v14, v20
	v_cmp_gt_i32_e64 s1, s16, v22
	v_cvt_f16_f32_e32 v15, v15
	v_cvt_f32_f16_e32 v17, v17
	v_cvt_f16_f32_e32 v19, v19
	v_cvt_f16_f32_e32 v25, v56
	s_and_b32 s3, s1, s0
	s_and_b32 s1, s1, vcc_lo
	v_add_f32_e32 v17, v123, v17
	v_pack_b32_f16 v15, v19, v15
	v_dual_add_f32 v19, v122, v24 :: v_dual_add_nc_u32 v16, s2, v18
	v_cvt_f16_f32_e32 v24, v55
	v_cndmask_b32_e64 v28, 0x80000000, 0, s1
	v_cmp_gt_i32_e64 s1, s16, v27
	s_delay_alu instid0(VALU_DEP_4)
	v_max_f32_e32 v19, 0, v19
	v_lshl_add_u32 v20, v16, 1, v23
	v_dual_max_f32 v16, 0, v17 :: v_dual_add_nc_u32 v23, s34, v16
	v_lshrrev_b32_e32 v17, 16, v21
	v_cvt_f32_f16_e32 v21, v21
	v_cvt_f16_f32_e32 v19, v19
	buffer_store_b64 v[14:15], v20, s[8:11], 0 offen
	v_cvt_f16_f32_e32 v26, v16
	v_cvt_f32_f16_e32 v17, v17
	v_pack_b32_f16 v16, v24, v25
	v_add_nc_u32_e32 v24, s34, v18
	v_cvt_f16_f32_e32 v18, v30
	v_cvt_f16_f32_e32 v25, v31
	v_add_f32_e32 v22, v120, v17
	v_add_f32_e32 v21, v121, v21
	v_pack_b32_f16 v17, v19, v26
	v_cndmask_b32_e64 v19, 0x80000000, 0, s3
	v_lshrrev_b32_e32 v26, 16, v29
	s_delay_alu instid0(VALU_DEP_4) | instskip(SKIP_1) | instid1(VALU_DEP_4)
	v_dual_max_f32 v22, 0, v22 :: v_dual_max_f32 v21, 0, v21
	v_pack_b32_f16 v18, v18, v25
	v_lshl_add_u32 v30, v23, 1, v19
	v_cvt_f32_f16_e32 v14, v29
	s_delay_alu instid0(VALU_DEP_4)
	v_cvt_f16_f32_e32 v22, v22
	v_cvt_f16_f32_e32 v21, v21
	v_cvt_f32_f16_e32 v20, v33
	buffer_store_b64 v[16:17], v30, s[8:11], 0 offen
	v_add_nc_u32_e32 v16, s34, v24
	s_and_b32 s3, s1, vcc_lo
	v_pack_b32_f16 v19, v21, v22
	v_cvt_f32_f16_e32 v21, v26
	v_lshl_add_u32 v22, v24, 1, v28
	v_add_f32_e32 v20, v117, v20
	v_cvt_f16_f32_e32 v17, v34
	v_cvt_f32_f16_e32 v24, v37
	v_add_f32_e32 v15, v119, v21
	buffer_store_b64 v[18:19], v22, s[8:11], 0 offen
	v_add_f32_e32 v14, v118, v14
	v_lshrrev_b32_e32 v18, 16, v33
	v_cndmask_b32_e64 v22, 0x80000000, 0, s3
	v_max_f32_e32 v15, 0, v15
	v_cvt_f16_f32_e32 v19, v57
	v_max_f32_e32 v14, 0, v14
	v_cvt_f32_f16_e32 v18, v18
	v_add_nc_u32_e32 v23, s34, v23
	v_cvt_f16_f32_e32 v15, v15
	s_and_b32 s1, s1, s0
	v_cvt_f16_f32_e32 v21, v14
	v_add_f32_e32 v18, v116, v18
	v_pack_b32_f16 v14, v17, v19
	v_max_f32_e32 v17, 0, v20
	v_cvt_f16_f32_e32 v19, v58
	v_pack_b32_f16 v15, v21, v15
	v_lshl_add_u32 v21, v16, 1, v22
	v_max_f32_e32 v16, 0, v18
	v_lshrrev_b32_e32 v18, 16, v37
	v_cvt_f16_f32_e32 v20, v36
	v_cvt_f16_f32_e32 v17, v17
	;; [unrolled: 1-line block ×4, first 2 shown]
	v_cvt_f32_f16_e32 v18, v18
	v_pack_b32_f16 v16, v19, v20
	v_add_f32_e32 v19, v114, v24
	v_cndmask_b32_e64 v20, 0x80000000, 0, s1
	v_cmp_gt_i32_e64 s1, s16, v32
	v_add_f32_e32 v18, v115, v18
	v_pack_b32_f16 v17, v17, v22
	v_max_f32_e32 v19, 0, v19
	v_add_nc_u32_e32 v22, s34, v23
	s_and_b32 s3, s1, s0
	v_max_f32_e32 v18, 0, v18
	v_cvt_f16_f32_e32 v24, v59
	v_cvt_f16_f32_e32 v19, v19
	v_cndmask_b32_e64 v27, 0x80000000, 0, s3
	v_lshl_add_u32 v20, v23, 1, v20
	v_cvt_f16_f32_e32 v26, v18
	v_pack_b32_f16 v18, v24, v25
	v_lshrrev_b32_e32 v28, 16, v35
	v_lshl_add_u32 v23, v22, 1, v27
	v_cvt_f32_f16_e32 v25, v35
	v_pack_b32_f16 v19, v19, v26
	s_clause 0x2
	buffer_store_b64 v[14:15], v21, s[8:11], 0 offen
	buffer_store_b64 v[16:17], v20, s[8:11], 0 offen
	;; [unrolled: 1-line block ×3, first 2 shown]
	v_lshrrev_b32_e32 v17, 16, v47
	v_cvt_f32_f16_e32 v24, v28
	v_add_f32_e32 v15, v112, v25
	s_and_b32 s1, s1, vcc_lo
	v_cvt_f32_f16_e32 v20, v47
	v_cvt_f32_f16_e32 v17, v17
	v_cndmask_b32_e64 v23, 0x80000000, 0, s1
	v_max_f32_e32 v15, 0, v15
	v_cvt_f16_f32_e32 v18, v38
	v_cvt_f16_f32_e32 v19, v39
	v_dual_add_f32 v17, v113, v17 :: v_dual_add_f32 v14, v111, v24
	v_subrev_nc_u32_e32 v16, s2, v22
	v_cvt_f16_f32_e32 v15, v15
	s_delay_alu instid0(VALU_DEP_3) | instskip(SKIP_1) | instid1(VALU_DEP_4)
	v_dual_add_f32 v20, v110, v20 :: v_dual_max_f32 v17, 0, v17
	v_cmp_gt_i32_e64 s1, s16, v44
	v_lshlrev_b32_e32 v22, 1, v16
	v_dual_max_f32 v14, 0, v14 :: v_dual_max_f32 v45, 0, v45
	s_delay_alu instid0(VALU_DEP_4) | instskip(NEXT) | instid1(VALU_DEP_4)
	v_cvt_f16_f32_e32 v17, v17
	s_and_b32 s3, s1, vcc_lo
	s_and_b32 s1, s1, s0
	s_delay_alu instid0(VALU_DEP_2) | instskip(SKIP_3) | instid1(VALU_DEP_4)
	v_cvt_f16_f32_e32 v21, v14
	v_pack_b32_f16 v14, v18, v19
	v_dual_max_f32 v18, 0, v20 :: v_dual_add_nc_u32 v19, v22, v23
	v_lshrrev_b32_e32 v23, 16, v48
	v_pack_b32_f16 v15, v15, v21
	v_cvt_f16_f32_e32 v20, v49
	v_cvt_f16_f32_e32 v21, v60
	;; [unrolled: 1-line block ×3, first 2 shown]
	v_cndmask_b32_e64 v24, 0x80000000, 0, s1
	buffer_store_b64 v[14:15], v19, s[8:11], 0 offen
	v_cvt_f32_f16_e32 v19, v23
	v_pack_b32_f16 v14, v20, v21
	v_cvt_f32_f16_e32 v20, v48
	v_pack_b32_f16 v15, v18, v17
	v_cndmask_b32_e64 v17, 0x80000000, 0, s3
	v_add_f32_e32 v18, v109, v19
	s_lshl_b32 s3, s34, 7
	v_add_f32_e32 v19, v108, v20
	v_lshl_add_u32 v21, s4, 6, v16
	v_add3_u32 v20, v17, s3, v22
	v_max_f32_e32 v16, 0, v18
	v_lshrrev_b32_e32 v17, 16, v43
	v_cvt_f16_f32_e32 v22, v53
	v_cmp_ge_i32_e64 s1, s16, v44
	v_cvt_f16_f32_e32 v9, v9
	v_cvt_f16_f32_e32 v23, v16
	v_cvt_f32_f16_e32 v16, v17
	v_max_f32_e32 v18, 0, v19
	v_cvt_f32_f16_e32 v17, v43
	v_cvt_f16_f32_e32 v19, v61
	s_and_b32 s1, s1, s0
	v_add_f32_e32 v25, v106, v16
	v_cvt_f16_f32_e32 v18, v18
	v_add_f32_e32 v26, v107, v17
	v_pack_b32_f16 v16, v19, v22
	v_lshl_add_u32 v22, v21, 1, v24
	v_cvt_f16_f32_e32 v24, v52
	v_pack_b32_f16 v17, v18, v23
	v_max_f32_e32 v19, 0, v26
	s_clause 0x1
	buffer_store_b64 v[14:15], v20, s[8:11], 0 offen
	buffer_store_b64 v[16:17], v22, s[8:11], 0 offen
	v_cvt_f32_f16_e32 v20, v13
	v_max_f32_e32 v18, 0, v25
	v_cvt_f16_f32_e32 v23, v51
	v_cvt_f16_f32_e32 v19, v19
	v_subrev_nc_u32_e32 v21, s34, v21
	v_cndmask_b32_e64 v27, 0x80000000, 0, s1
	v_cvt_f16_f32_e32 v25, v18
	v_lshrrev_b32_e32 v26, 16, v41
	v_pack_b32_f16 v18, v23, v24
	v_cvt_f32_f16_e32 v24, v41
	v_cvt_f16_f32_e32 v17, v46
	v_pack_b32_f16 v19, v19, v25
	v_lshl_add_u32 v25, v21, 1, v27
	v_cvt_f32_f16_e32 v23, v26
	v_add_f32_e32 v15, v105, v24
	v_subrev_nc_u32_e32 v16, s2, v21
	v_cmp_gt_i32_e64 s1, s16, v10
	buffer_store_b64 v[18:19], v25, s[8:11], 0 offen
	v_cvt_f16_f32_e32 v19, v45
	v_lshrrev_b32_e32 v18, 16, v13
	v_max_f32_e32 v15, 0, v15
	s_and_b32 s1, s1, vcc_lo
	v_cvt_f16_f32_e32 v6, v6
	v_pack_b32_f16 v13, v17, v19
	v_dual_add_f32 v17, v103, v20 :: v_dual_add_f32 v14, v104, v23
	v_subrev_nc_u32_e32 v19, s34, v16
	v_cvt_f16_f32_e32 v15, v15
	v_cvt_f32_f16_e32 v18, v18
	s_delay_alu instid0(VALU_DEP_4)
	v_dual_max_f32 v17, 0, v17 :: v_dual_max_f32 v14, 0, v14
	v_cndmask_b32_e64 v21, 0x80000000, 0, s1
	v_cmp_ge_i32_e64 s1, s16, v10
	v_lshrrev_b32_e32 v20, 16, v8
	v_cvt_f16_f32_e32 v10, v12
	v_cvt_f16_f32_e32 v14, v14
	;; [unrolled: 1-line block ×3, first 2 shown]
	s_and_b32 s1, s1, vcc_lo
	v_cvt_f32_f16_e32 v20, v20
	v_cvt_f32_f16_e32 v8, v8
	v_pack_b32_f16 v14, v15, v14
	v_add_f32_e32 v15, v102, v18
	v_lshl_add_u32 v18, v16, 1, v21
	v_cvt_f16_f32_e32 v16, v42
	v_cndmask_b32_e64 v21, 0x80000000, 0, s1
	s_delay_alu instid0(VALU_DEP_4) | instskip(SKIP_2) | instid1(VALU_DEP_3)
	v_dual_add_f32 v8, v101, v8 :: v_dual_max_f32 v15, 0, v15
	v_cmp_gt_i32_e64 s1, s16, v4
	v_cvt_f16_f32_e32 v2, v2
	v_max_f32_e32 v8, 0, v8
	s_delay_alu instid0(VALU_DEP_4) | instskip(SKIP_2) | instid1(VALU_DEP_2)
	v_cvt_f16_f32_e32 v12, v15
	v_pack_b32_f16 v15, v16, v10
	s_and_b32 s1, s1, s0
	v_pack_b32_f16 v16, v17, v12
	v_lshl_add_u32 v12, v19, 1, v21
	v_add_nc_u32_e32 v17, s2, v19
	v_lshrrev_b32_e32 v19, 16, v5
	v_cvt_f32_f16_e32 v5, v5
	v_add_f32_e32 v10, v100, v20
	v_cvt_f16_f32_e32 v20, v8
	v_pack_b32_f16 v8, v11, v9
	v_cvt_f32_f16_e32 v19, v19
	s_delay_alu instid0(VALU_DEP_4) | instskip(SKIP_3) | instid1(VALU_DEP_4)
	v_dual_add_f32 v5, v98, v5 :: v_dual_max_f32 v10, 0, v10
	v_cndmask_b32_e64 v21, 0x80000000, 0, s1
	v_cmp_ge_i32_e64 s1, s16, v4
	v_cmp_gt_i32_e64 s2, s16, v0
	v_cvt_f16_f32_e32 v10, v10
	s_delay_alu instid0(VALU_DEP_4) | instskip(SKIP_2) | instid1(VALU_DEP_3)
	v_lshl_add_u32 v11, v17, 1, v21
	v_subrev_nc_u32_e32 v17, s34, v17
	s_and_b32 s0, s1, s0
	v_pack_b32_f16 v9, v20, v10
	v_add_f32_e32 v10, v99, v19
	v_lshrrev_b32_e32 v19, 16, v1
	v_max_f32_e32 v20, 0, v5
	v_pack_b32_f16 v5, v6, v7
	v_cvt_f32_f16_e32 v1, v1
	v_max_f32_e32 v10, 0, v10
	v_cvt_f32_f16_e32 v7, v19
	v_cvt_f16_f32_e32 v4, v20
	s_delay_alu instid0(VALU_DEP_4) | instskip(SKIP_1) | instid1(VALU_DEP_4)
	v_add_f32_e32 v0, v96, v1
	v_cndmask_b32_e64 v1, 0x80000000, 0, s0
	v_add_f32_e32 v7, v97, v7
	s_and_b32 s0, s2, vcc_lo
	v_cvt_f16_f32_e32 v6, v10
	v_lshlrev_b32_e32 v10, 1, v17
	s_delay_alu instid0(VALU_DEP_3) | instskip(SKIP_3) | instid1(VALU_DEP_3)
	v_dual_max_f32 v0, 0, v0 :: v_dual_max_f32 v7, 0, v7
	v_cndmask_b32_e64 v17, 0x80000000, 0, s0
	s_lshl_b32 s0, s35, 7
	v_pack_b32_f16 v6, v4, v6
	v_cvt_f16_f32_e32 v19, v0
	v_cvt_f16_f32_e32 v7, v7
	v_subrev_nc_u32_e32 v17, s0, v17
	v_add_nc_u32_e32 v4, v10, v1
	v_pack_b32_f16 v0, v3, v2
	s_delay_alu instid0(VALU_DEP_4) | instskip(NEXT) | instid1(VALU_DEP_4)
	v_pack_b32_f16 v1, v19, v7
	v_add_nc_u32_e32 v2, v17, v10
	s_clause 0x4
	buffer_store_b64 v[13:14], v18, s[8:11], 0 offen
	buffer_store_b64 v[15:16], v12, s[8:11], 0 offen
	;; [unrolled: 1-line block ×5, first 2 shown]
	s_nop 0
	s_sendmsg sendmsg(MSG_DEALLOC_VGPRS)
	s_endpgm
	.section	.rodata,"a",@progbits
	.p2align	6, 0x0
	.amdhsa_kernel _ZN2ck16tensor_operation6device12_GLOBAL__N_137kernel_grouped_conv_fwd_dl_multiple_dINS_32GridwiseGemmDlMultipleD_km_kn_mnILi256EDF16_fNS_5TupleIJDF16_EEEDF16_NS0_12element_wise11PassThroughES8_NS7_7AddReluELNS_25InMemoryDataOperationEnumE0ENS_16TensorDescriptorINS5_IJNS_5EmbedINS5_IJiiiEEESD_Lb0EEENS_11PassThroughIiEENS_3PadIiiiLb0EEESG_SG_NSC_INS5_IJiiEEESJ_Lb0EEESG_NS_23Merge_v2_magic_divisionISJ_EESM_NS_8RightPadIiiLb0EEESO_NS_7UnMergeISJ_Lb0EEESG_EEENS5_IJNS_8SequenceIJLi0EEEENSS_IJLi1EEEENSS_IJLi2EEEENSS_IJLi3EEEENSS_IJLi4EEEENSS_IJLi5EEEENSS_IJLi6EEEENSS_IJLi7ELi9EEEENSS_IJLi8ELi10EEEENSS_IJLi11EEEENSS_IJLi12EEEENSS_IJLi14EEEENSS_IJLi13EEEEEEENS5_IJNSS_IJLi1ELi2ELi3EEEESX_SY_SZ_NSS_IJLi7EEEENSS_IJLi8ELi9EEEENSS_IJLi10EEEES12_S13_S15_S14_NSS_IJLi15ELi16EEEENSS_IJLi17EEEEEEENSS_IJLi15ELi17ELi16EEEElEENSB_INS5_IJSQ_SO_SO_SQ_SG_EEENS5_IJST_SU_SV_SX_SW_EEENS5_IJNSS_IJLi1ELi2EEEESW_SX_NSS_IJLi5ELi6EEEES18_EEENSS_IJLi5ELi7ELi6EEEElEENSB_INS5_IJSK_SO_SO_EEENS5_IJST_SU_SV_EEENS5_IJS1I_SW_SX_EEENSS_IJLi3ELi4EEEElEELi128ELi128ELi16ELi2ELi4ELi4ELi1ENSS_IJLi8ELi2EEEES1S_NSS_IJLi8ELi1ELi1ELi2EEEENSS_IJLi2ELi1ELi128ELi1EEEENSS_IJLi1ELi2ELi0ELi3EEEES1V_NSS_IJLi4ELi1ELi1ELi2EEEES1V_NSS_IJLi1ELi1ELi1ELi2EEEES1T_S1U_S1V_S1V_S1W_S1V_S1X_NSS_IJLi0ELi1ELi2ELi3ELi4ELi5EEEELi5ELi4EEEDF16_NS5_IJPKDF16_EEEDF16_S8_S8_S9_NSB_INS5_IJSE_SG_SI_SG_SG_SK_SG_SM_SM_SO_SO_SQ_SG_SG_NSP_INS5_IJiNS_17integral_constantIiLi128EEEEEELb0EEENSF_INS23_IiLi2EEEEEEEENS5_IJST_SU_SV_SW_SX_SY_SZ_S10_S11_S12_S13_S14_S15_NSS_IJLi15EEEES1C_NSS_IJLi16EEEEEEENS5_IJS17_SX_SY_SZ_S18_S19_S1A_S12_S13_S15_S14_S1B_S1C_NSS_IJLi18EEEENSS_IJLi19ELi20EEEENSS_IJLi21EEEEEEENSS_IJLi18ELi19ELi20ELi21EEEElEENSB_INS5_IJSQ_SO_SO_SQ_SG_SG_S26_S28_EEENS5_IJST_SU_SV_SX_SW_SY_S18_SZ_EEENS5_IJS1I_SW_SX_S1J_S18_NSS_IJLi8EEEENSS_IJLi9ELi10EEEES12_EEENSS_IJLi8ELi9ELi10ELi11EEEElEENS5_IJNSB_INS5_IJSK_SO_SO_NSP_INS5_IJiS27_NS23_IiLi64EEEEEELb0EEES2S_EEENS5_IJST_SU_SV_SW_SX_EEENS5_IJS1I_SW_SX_NSS_IJLi5ELi6ELi7EEEENSS_IJLi8ELi9ELi10EEEEEEENSS_IJLi5ELi6ELi7ELi8ELi9ELi10EEEElEEEEES2Z_NS_31BlockToCTileMap_M00_N00_M01_N01ILi128ELi128ES1R_Lb0EEENS1_30ComputePtrOffsetOfStridedBatchILi1ELi1ELi1EvEELb1ELb1EEEvPKT0_S37_T1_PT2_T3_T4_T5_iT6_T7_T8_T9_T10_T11_
		.amdhsa_group_segment_fixed_size 32768
		.amdhsa_private_segment_fixed_size 0
		.amdhsa_kernarg_size 904
		.amdhsa_user_sgpr_count 15
		.amdhsa_user_sgpr_dispatch_ptr 0
		.amdhsa_user_sgpr_queue_ptr 0
		.amdhsa_user_sgpr_kernarg_segment_ptr 1
		.amdhsa_user_sgpr_dispatch_id 0
		.amdhsa_user_sgpr_private_segment_size 0
		.amdhsa_wavefront_size32 1
		.amdhsa_uses_dynamic_stack 0
		.amdhsa_enable_private_segment 0
		.amdhsa_system_sgpr_workgroup_id_x 1
		.amdhsa_system_sgpr_workgroup_id_y 0
		.amdhsa_system_sgpr_workgroup_id_z 0
		.amdhsa_system_sgpr_workgroup_info 0
		.amdhsa_system_vgpr_workitem_id 0
		.amdhsa_next_free_vgpr 174
		.amdhsa_next_free_sgpr 63
		.amdhsa_reserve_vcc 1
		.amdhsa_float_round_mode_32 0
		.amdhsa_float_round_mode_16_64 0
		.amdhsa_float_denorm_mode_32 3
		.amdhsa_float_denorm_mode_16_64 3
		.amdhsa_dx10_clamp 1
		.amdhsa_ieee_mode 1
		.amdhsa_fp16_overflow 0
		.amdhsa_workgroup_processor_mode 1
		.amdhsa_memory_ordered 1
		.amdhsa_forward_progress 0
		.amdhsa_shared_vgpr_count 0
		.amdhsa_exception_fp_ieee_invalid_op 0
		.amdhsa_exception_fp_denorm_src 0
		.amdhsa_exception_fp_ieee_div_zero 0
		.amdhsa_exception_fp_ieee_overflow 0
		.amdhsa_exception_fp_ieee_underflow 0
		.amdhsa_exception_fp_ieee_inexact 0
		.amdhsa_exception_int_div_zero 0
	.end_amdhsa_kernel
	.section	.text._ZN2ck16tensor_operation6device12_GLOBAL__N_137kernel_grouped_conv_fwd_dl_multiple_dINS_32GridwiseGemmDlMultipleD_km_kn_mnILi256EDF16_fNS_5TupleIJDF16_EEEDF16_NS0_12element_wise11PassThroughES8_NS7_7AddReluELNS_25InMemoryDataOperationEnumE0ENS_16TensorDescriptorINS5_IJNS_5EmbedINS5_IJiiiEEESD_Lb0EEENS_11PassThroughIiEENS_3PadIiiiLb0EEESG_SG_NSC_INS5_IJiiEEESJ_Lb0EEESG_NS_23Merge_v2_magic_divisionISJ_EESM_NS_8RightPadIiiLb0EEESO_NS_7UnMergeISJ_Lb0EEESG_EEENS5_IJNS_8SequenceIJLi0EEEENSS_IJLi1EEEENSS_IJLi2EEEENSS_IJLi3EEEENSS_IJLi4EEEENSS_IJLi5EEEENSS_IJLi6EEEENSS_IJLi7ELi9EEEENSS_IJLi8ELi10EEEENSS_IJLi11EEEENSS_IJLi12EEEENSS_IJLi14EEEENSS_IJLi13EEEEEEENS5_IJNSS_IJLi1ELi2ELi3EEEESX_SY_SZ_NSS_IJLi7EEEENSS_IJLi8ELi9EEEENSS_IJLi10EEEES12_S13_S15_S14_NSS_IJLi15ELi16EEEENSS_IJLi17EEEEEEENSS_IJLi15ELi17ELi16EEEElEENSB_INS5_IJSQ_SO_SO_SQ_SG_EEENS5_IJST_SU_SV_SX_SW_EEENS5_IJNSS_IJLi1ELi2EEEESW_SX_NSS_IJLi5ELi6EEEES18_EEENSS_IJLi5ELi7ELi6EEEElEENSB_INS5_IJSK_SO_SO_EEENS5_IJST_SU_SV_EEENS5_IJS1I_SW_SX_EEENSS_IJLi3ELi4EEEElEELi128ELi128ELi16ELi2ELi4ELi4ELi1ENSS_IJLi8ELi2EEEES1S_NSS_IJLi8ELi1ELi1ELi2EEEENSS_IJLi2ELi1ELi128ELi1EEEENSS_IJLi1ELi2ELi0ELi3EEEES1V_NSS_IJLi4ELi1ELi1ELi2EEEES1V_NSS_IJLi1ELi1ELi1ELi2EEEES1T_S1U_S1V_S1V_S1W_S1V_S1X_NSS_IJLi0ELi1ELi2ELi3ELi4ELi5EEEELi5ELi4EEEDF16_NS5_IJPKDF16_EEEDF16_S8_S8_S9_NSB_INS5_IJSE_SG_SI_SG_SG_SK_SG_SM_SM_SO_SO_SQ_SG_SG_NSP_INS5_IJiNS_17integral_constantIiLi128EEEEEELb0EEENSF_INS23_IiLi2EEEEEEEENS5_IJST_SU_SV_SW_SX_SY_SZ_S10_S11_S12_S13_S14_S15_NSS_IJLi15EEEES1C_NSS_IJLi16EEEEEEENS5_IJS17_SX_SY_SZ_S18_S19_S1A_S12_S13_S15_S14_S1B_S1C_NSS_IJLi18EEEENSS_IJLi19ELi20EEEENSS_IJLi21EEEEEEENSS_IJLi18ELi19ELi20ELi21EEEElEENSB_INS5_IJSQ_SO_SO_SQ_SG_SG_S26_S28_EEENS5_IJST_SU_SV_SX_SW_SY_S18_SZ_EEENS5_IJS1I_SW_SX_S1J_S18_NSS_IJLi8EEEENSS_IJLi9ELi10EEEES12_EEENSS_IJLi8ELi9ELi10ELi11EEEElEENS5_IJNSB_INS5_IJSK_SO_SO_NSP_INS5_IJiS27_NS23_IiLi64EEEEEELb0EEES2S_EEENS5_IJST_SU_SV_SW_SX_EEENS5_IJS1I_SW_SX_NSS_IJLi5ELi6ELi7EEEENSS_IJLi8ELi9ELi10EEEEEEENSS_IJLi5ELi6ELi7ELi8ELi9ELi10EEEElEEEEES2Z_NS_31BlockToCTileMap_M00_N00_M01_N01ILi128ELi128ES1R_Lb0EEENS1_30ComputePtrOffsetOfStridedBatchILi1ELi1ELi1EvEELb1ELb1EEEvPKT0_S37_T1_PT2_T3_T4_T5_iT6_T7_T8_T9_T10_T11_,"axG",@progbits,_ZN2ck16tensor_operation6device12_GLOBAL__N_137kernel_grouped_conv_fwd_dl_multiple_dINS_32GridwiseGemmDlMultipleD_km_kn_mnILi256EDF16_fNS_5TupleIJDF16_EEEDF16_NS0_12element_wise11PassThroughES8_NS7_7AddReluELNS_25InMemoryDataOperationEnumE0ENS_16TensorDescriptorINS5_IJNS_5EmbedINS5_IJiiiEEESD_Lb0EEENS_11PassThroughIiEENS_3PadIiiiLb0EEESG_SG_NSC_INS5_IJiiEEESJ_Lb0EEESG_NS_23Merge_v2_magic_divisionISJ_EESM_NS_8RightPadIiiLb0EEESO_NS_7UnMergeISJ_Lb0EEESG_EEENS5_IJNS_8SequenceIJLi0EEEENSS_IJLi1EEEENSS_IJLi2EEEENSS_IJLi3EEEENSS_IJLi4EEEENSS_IJLi5EEEENSS_IJLi6EEEENSS_IJLi7ELi9EEEENSS_IJLi8ELi10EEEENSS_IJLi11EEEENSS_IJLi12EEEENSS_IJLi14EEEENSS_IJLi13EEEEEEENS5_IJNSS_IJLi1ELi2ELi3EEEESX_SY_SZ_NSS_IJLi7EEEENSS_IJLi8ELi9EEEENSS_IJLi10EEEES12_S13_S15_S14_NSS_IJLi15ELi16EEEENSS_IJLi17EEEEEEENSS_IJLi15ELi17ELi16EEEElEENSB_INS5_IJSQ_SO_SO_SQ_SG_EEENS5_IJST_SU_SV_SX_SW_EEENS5_IJNSS_IJLi1ELi2EEEESW_SX_NSS_IJLi5ELi6EEEES18_EEENSS_IJLi5ELi7ELi6EEEElEENSB_INS5_IJSK_SO_SO_EEENS5_IJST_SU_SV_EEENS5_IJS1I_SW_SX_EEENSS_IJLi3ELi4EEEElEELi128ELi128ELi16ELi2ELi4ELi4ELi1ENSS_IJLi8ELi2EEEES1S_NSS_IJLi8ELi1ELi1ELi2EEEENSS_IJLi2ELi1ELi128ELi1EEEENSS_IJLi1ELi2ELi0ELi3EEEES1V_NSS_IJLi4ELi1ELi1ELi2EEEES1V_NSS_IJLi1ELi1ELi1ELi2EEEES1T_S1U_S1V_S1V_S1W_S1V_S1X_NSS_IJLi0ELi1ELi2ELi3ELi4ELi5EEEELi5ELi4EEEDF16_NS5_IJPKDF16_EEEDF16_S8_S8_S9_NSB_INS5_IJSE_SG_SI_SG_SG_SK_SG_SM_SM_SO_SO_SQ_SG_SG_NSP_INS5_IJiNS_17integral_constantIiLi128EEEEEELb0EEENSF_INS23_IiLi2EEEEEEEENS5_IJST_SU_SV_SW_SX_SY_SZ_S10_S11_S12_S13_S14_S15_NSS_IJLi15EEEES1C_NSS_IJLi16EEEEEEENS5_IJS17_SX_SY_SZ_S18_S19_S1A_S12_S13_S15_S14_S1B_S1C_NSS_IJLi18EEEENSS_IJLi19ELi20EEEENSS_IJLi21EEEEEEENSS_IJLi18ELi19ELi20ELi21EEEElEENSB_INS5_IJSQ_SO_SO_SQ_SG_SG_S26_S28_EEENS5_IJST_SU_SV_SX_SW_SY_S18_SZ_EEENS5_IJS1I_SW_SX_S1J_S18_NSS_IJLi8EEEENSS_IJLi9ELi10EEEES12_EEENSS_IJLi8ELi9ELi10ELi11EEEElEENS5_IJNSB_INS5_IJSK_SO_SO_NSP_INS5_IJiS27_NS23_IiLi64EEEEEELb0EEES2S_EEENS5_IJST_SU_SV_SW_SX_EEENS5_IJS1I_SW_SX_NSS_IJLi5ELi6ELi7EEEENSS_IJLi8ELi9ELi10EEEEEEENSS_IJLi5ELi6ELi7ELi8ELi9ELi10EEEElEEEEES2Z_NS_31BlockToCTileMap_M00_N00_M01_N01ILi128ELi128ES1R_Lb0EEENS1_30ComputePtrOffsetOfStridedBatchILi1ELi1ELi1EvEELb1ELb1EEEvPKT0_S37_T1_PT2_T3_T4_T5_iT6_T7_T8_T9_T10_T11_,comdat
.Lfunc_end1:
	.size	_ZN2ck16tensor_operation6device12_GLOBAL__N_137kernel_grouped_conv_fwd_dl_multiple_dINS_32GridwiseGemmDlMultipleD_km_kn_mnILi256EDF16_fNS_5TupleIJDF16_EEEDF16_NS0_12element_wise11PassThroughES8_NS7_7AddReluELNS_25InMemoryDataOperationEnumE0ENS_16TensorDescriptorINS5_IJNS_5EmbedINS5_IJiiiEEESD_Lb0EEENS_11PassThroughIiEENS_3PadIiiiLb0EEESG_SG_NSC_INS5_IJiiEEESJ_Lb0EEESG_NS_23Merge_v2_magic_divisionISJ_EESM_NS_8RightPadIiiLb0EEESO_NS_7UnMergeISJ_Lb0EEESG_EEENS5_IJNS_8SequenceIJLi0EEEENSS_IJLi1EEEENSS_IJLi2EEEENSS_IJLi3EEEENSS_IJLi4EEEENSS_IJLi5EEEENSS_IJLi6EEEENSS_IJLi7ELi9EEEENSS_IJLi8ELi10EEEENSS_IJLi11EEEENSS_IJLi12EEEENSS_IJLi14EEEENSS_IJLi13EEEEEEENS5_IJNSS_IJLi1ELi2ELi3EEEESX_SY_SZ_NSS_IJLi7EEEENSS_IJLi8ELi9EEEENSS_IJLi10EEEES12_S13_S15_S14_NSS_IJLi15ELi16EEEENSS_IJLi17EEEEEEENSS_IJLi15ELi17ELi16EEEElEENSB_INS5_IJSQ_SO_SO_SQ_SG_EEENS5_IJST_SU_SV_SX_SW_EEENS5_IJNSS_IJLi1ELi2EEEESW_SX_NSS_IJLi5ELi6EEEES18_EEENSS_IJLi5ELi7ELi6EEEElEENSB_INS5_IJSK_SO_SO_EEENS5_IJST_SU_SV_EEENS5_IJS1I_SW_SX_EEENSS_IJLi3ELi4EEEElEELi128ELi128ELi16ELi2ELi4ELi4ELi1ENSS_IJLi8ELi2EEEES1S_NSS_IJLi8ELi1ELi1ELi2EEEENSS_IJLi2ELi1ELi128ELi1EEEENSS_IJLi1ELi2ELi0ELi3EEEES1V_NSS_IJLi4ELi1ELi1ELi2EEEES1V_NSS_IJLi1ELi1ELi1ELi2EEEES1T_S1U_S1V_S1V_S1W_S1V_S1X_NSS_IJLi0ELi1ELi2ELi3ELi4ELi5EEEELi5ELi4EEEDF16_NS5_IJPKDF16_EEEDF16_S8_S8_S9_NSB_INS5_IJSE_SG_SI_SG_SG_SK_SG_SM_SM_SO_SO_SQ_SG_SG_NSP_INS5_IJiNS_17integral_constantIiLi128EEEEEELb0EEENSF_INS23_IiLi2EEEEEEEENS5_IJST_SU_SV_SW_SX_SY_SZ_S10_S11_S12_S13_S14_S15_NSS_IJLi15EEEES1C_NSS_IJLi16EEEEEEENS5_IJS17_SX_SY_SZ_S18_S19_S1A_S12_S13_S15_S14_S1B_S1C_NSS_IJLi18EEEENSS_IJLi19ELi20EEEENSS_IJLi21EEEEEEENSS_IJLi18ELi19ELi20ELi21EEEElEENSB_INS5_IJSQ_SO_SO_SQ_SG_SG_S26_S28_EEENS5_IJST_SU_SV_SX_SW_SY_S18_SZ_EEENS5_IJS1I_SW_SX_S1J_S18_NSS_IJLi8EEEENSS_IJLi9ELi10EEEES12_EEENSS_IJLi8ELi9ELi10ELi11EEEElEENS5_IJNSB_INS5_IJSK_SO_SO_NSP_INS5_IJiS27_NS23_IiLi64EEEEEELb0EEES2S_EEENS5_IJST_SU_SV_SW_SX_EEENS5_IJS1I_SW_SX_NSS_IJLi5ELi6ELi7EEEENSS_IJLi8ELi9ELi10EEEEEEENSS_IJLi5ELi6ELi7ELi8ELi9ELi10EEEElEEEEES2Z_NS_31BlockToCTileMap_M00_N00_M01_N01ILi128ELi128ES1R_Lb0EEENS1_30ComputePtrOffsetOfStridedBatchILi1ELi1ELi1EvEELb1ELb1EEEvPKT0_S37_T1_PT2_T3_T4_T5_iT6_T7_T8_T9_T10_T11_, .Lfunc_end1-_ZN2ck16tensor_operation6device12_GLOBAL__N_137kernel_grouped_conv_fwd_dl_multiple_dINS_32GridwiseGemmDlMultipleD_km_kn_mnILi256EDF16_fNS_5TupleIJDF16_EEEDF16_NS0_12element_wise11PassThroughES8_NS7_7AddReluELNS_25InMemoryDataOperationEnumE0ENS_16TensorDescriptorINS5_IJNS_5EmbedINS5_IJiiiEEESD_Lb0EEENS_11PassThroughIiEENS_3PadIiiiLb0EEESG_SG_NSC_INS5_IJiiEEESJ_Lb0EEESG_NS_23Merge_v2_magic_divisionISJ_EESM_NS_8RightPadIiiLb0EEESO_NS_7UnMergeISJ_Lb0EEESG_EEENS5_IJNS_8SequenceIJLi0EEEENSS_IJLi1EEEENSS_IJLi2EEEENSS_IJLi3EEEENSS_IJLi4EEEENSS_IJLi5EEEENSS_IJLi6EEEENSS_IJLi7ELi9EEEENSS_IJLi8ELi10EEEENSS_IJLi11EEEENSS_IJLi12EEEENSS_IJLi14EEEENSS_IJLi13EEEEEEENS5_IJNSS_IJLi1ELi2ELi3EEEESX_SY_SZ_NSS_IJLi7EEEENSS_IJLi8ELi9EEEENSS_IJLi10EEEES12_S13_S15_S14_NSS_IJLi15ELi16EEEENSS_IJLi17EEEEEEENSS_IJLi15ELi17ELi16EEEElEENSB_INS5_IJSQ_SO_SO_SQ_SG_EEENS5_IJST_SU_SV_SX_SW_EEENS5_IJNSS_IJLi1ELi2EEEESW_SX_NSS_IJLi5ELi6EEEES18_EEENSS_IJLi5ELi7ELi6EEEElEENSB_INS5_IJSK_SO_SO_EEENS5_IJST_SU_SV_EEENS5_IJS1I_SW_SX_EEENSS_IJLi3ELi4EEEElEELi128ELi128ELi16ELi2ELi4ELi4ELi1ENSS_IJLi8ELi2EEEES1S_NSS_IJLi8ELi1ELi1ELi2EEEENSS_IJLi2ELi1ELi128ELi1EEEENSS_IJLi1ELi2ELi0ELi3EEEES1V_NSS_IJLi4ELi1ELi1ELi2EEEES1V_NSS_IJLi1ELi1ELi1ELi2EEEES1T_S1U_S1V_S1V_S1W_S1V_S1X_NSS_IJLi0ELi1ELi2ELi3ELi4ELi5EEEELi5ELi4EEEDF16_NS5_IJPKDF16_EEEDF16_S8_S8_S9_NSB_INS5_IJSE_SG_SI_SG_SG_SK_SG_SM_SM_SO_SO_SQ_SG_SG_NSP_INS5_IJiNS_17integral_constantIiLi128EEEEEELb0EEENSF_INS23_IiLi2EEEEEEEENS5_IJST_SU_SV_SW_SX_SY_SZ_S10_S11_S12_S13_S14_S15_NSS_IJLi15EEEES1C_NSS_IJLi16EEEEEEENS5_IJS17_SX_SY_SZ_S18_S19_S1A_S12_S13_S15_S14_S1B_S1C_NSS_IJLi18EEEENSS_IJLi19ELi20EEEENSS_IJLi21EEEEEEENSS_IJLi18ELi19ELi20ELi21EEEElEENSB_INS5_IJSQ_SO_SO_SQ_SG_SG_S26_S28_EEENS5_IJST_SU_SV_SX_SW_SY_S18_SZ_EEENS5_IJS1I_SW_SX_S1J_S18_NSS_IJLi8EEEENSS_IJLi9ELi10EEEES12_EEENSS_IJLi8ELi9ELi10ELi11EEEElEENS5_IJNSB_INS5_IJSK_SO_SO_NSP_INS5_IJiS27_NS23_IiLi64EEEEEELb0EEES2S_EEENS5_IJST_SU_SV_SW_SX_EEENS5_IJS1I_SW_SX_NSS_IJLi5ELi6ELi7EEEENSS_IJLi8ELi9ELi10EEEEEEENSS_IJLi5ELi6ELi7ELi8ELi9ELi10EEEElEEEEES2Z_NS_31BlockToCTileMap_M00_N00_M01_N01ILi128ELi128ES1R_Lb0EEENS1_30ComputePtrOffsetOfStridedBatchILi1ELi1ELi1EvEELb1ELb1EEEvPKT0_S37_T1_PT2_T3_T4_T5_iT6_T7_T8_T9_T10_T11_
                                        ; -- End function
	.section	.AMDGPU.csdata,"",@progbits
; Kernel info:
; codeLenInByte = 26016
; NumSgprs: 65
; NumVgprs: 174
; ScratchSize: 0
; MemoryBound: 0
; FloatMode: 240
; IeeeMode: 1
; LDSByteSize: 32768 bytes/workgroup (compile time only)
; SGPRBlocks: 8
; VGPRBlocks: 21
; NumSGPRsForWavesPerEU: 65
; NumVGPRsForWavesPerEU: 174
; Occupancy: 8
; WaveLimiterHint : 0
; COMPUTE_PGM_RSRC2:SCRATCH_EN: 0
; COMPUTE_PGM_RSRC2:USER_SGPR: 15
; COMPUTE_PGM_RSRC2:TRAP_HANDLER: 0
; COMPUTE_PGM_RSRC2:TGID_X_EN: 1
; COMPUTE_PGM_RSRC2:TGID_Y_EN: 0
; COMPUTE_PGM_RSRC2:TGID_Z_EN: 0
; COMPUTE_PGM_RSRC2:TIDIG_COMP_CNT: 0
	.section	.text._ZN2ck16tensor_operation6device12_GLOBAL__N_137kernel_grouped_conv_fwd_dl_multiple_dINS_32GridwiseGemmDlMultipleD_km_kn_mnILi256EDF16_fNS_5TupleIJDF16_EEEDF16_NS0_12element_wise11PassThroughES8_NS7_7AddReluELNS_25InMemoryDataOperationEnumE0ENS_16TensorDescriptorINS5_IJNS_5EmbedINS5_IJiiiEEESD_Lb0EEENS_11PassThroughIiEENS_3PadIiiiLb0EEESG_SG_NSC_INS5_IJiiEEESJ_Lb0EEESG_NS_23Merge_v2_magic_divisionISJ_EESM_NS_8RightPadIiiLb0EEESO_NS_7UnMergeISJ_Lb0EEESG_EEENS5_IJNS_8SequenceIJLi0EEEENSS_IJLi1EEEENSS_IJLi2EEEENSS_IJLi3EEEENSS_IJLi4EEEENSS_IJLi5EEEENSS_IJLi6EEEENSS_IJLi7ELi9EEEENSS_IJLi8ELi10EEEENSS_IJLi11EEEENSS_IJLi12EEEENSS_IJLi14EEEENSS_IJLi13EEEEEEENS5_IJNSS_IJLi1ELi2ELi3EEEESX_SY_SZ_NSS_IJLi7EEEENSS_IJLi8ELi9EEEENSS_IJLi10EEEES12_S13_S15_S14_NSS_IJLi15ELi16EEEENSS_IJLi17EEEEEEENSS_IJLi15ELi17ELi16EEEElEENSB_INS5_IJSQ_SO_SO_SQ_SG_EEENS5_IJST_SU_SV_SX_SW_EEENS5_IJNSS_IJLi1ELi2EEEESW_SX_NSS_IJLi5ELi6EEEES18_EEENSS_IJLi5ELi7ELi6EEEElEENSB_INS5_IJSK_SO_SO_EEENS5_IJST_SU_SV_EEENS5_IJS1I_SW_SX_EEENSS_IJLi3ELi4EEEElEELi128ELi128ELi16ELi2ELi4ELi4ELi1ENSS_IJLi8ELi2EEEES1S_NSS_IJLi8ELi1ELi1ELi2EEEENSS_IJLi2ELi1ELi128ELi1EEEENSS_IJLi1ELi2ELi0ELi3EEEES1V_NSS_IJLi4ELi1ELi1ELi2EEEES1V_NSS_IJLi1ELi1ELi1ELi2EEEES1T_S1U_S1V_S1V_S1W_S1V_S1X_NSS_IJLi0ELi1ELi2ELi3ELi4ELi5EEEELi5ELi4EEEDF16_NS5_IJPKDF16_EEEDF16_S8_S8_S9_NSB_INS5_IJSE_SG_SI_SG_SG_SK_SG_SM_SM_SO_SO_SQ_SG_SG_NSP_INS5_IJiNS_17integral_constantIiLi128EEEEEELb0EEENSF_INS23_IiLi2EEEEEEEENS5_IJST_SU_SV_SW_SX_SY_SZ_S10_S11_S12_S13_S14_S15_NSS_IJLi15EEEES1C_NSS_IJLi16EEEEEEENS5_IJS17_SX_SY_SZ_S18_S19_S1A_S12_S13_S15_S14_S1B_S1C_NSS_IJLi18EEEENSS_IJLi19ELi20EEEENSS_IJLi21EEEEEEENSS_IJLi18ELi19ELi20ELi21EEEElEENSB_INS5_IJSQ_SO_SO_SQ_SG_SG_S26_S28_EEENS5_IJST_SU_SV_SX_SW_SY_S18_SZ_EEENS5_IJS1I_SW_SX_S1J_S18_NSS_IJLi8EEEENSS_IJLi9ELi10EEEES12_EEENSS_IJLi8ELi9ELi10ELi11EEEElEENS5_IJNSB_INS5_IJSK_SO_SO_NSP_INS5_IJiS27_NS23_IiLi64EEEEEELb0EEES2S_EEENS5_IJST_SU_SV_SW_SX_EEENS5_IJS1I_SW_SX_NSS_IJLi5ELi6ELi7EEEENSS_IJLi8ELi9ELi10EEEEEEENSS_IJLi5ELi6ELi7ELi8ELi9ELi10EEEElEEEEES2Z_NS_31BlockToCTileMap_M00_N00_M01_N01ILi128ELi128ES1R_Lb0EEENS1_30ComputePtrOffsetOfStridedBatchILi1ELi1ELi1EvEELb1ELb0EEEvPKT0_S37_T1_PT2_T3_T4_T5_iT6_T7_T8_T9_T10_T11_,"axG",@progbits,_ZN2ck16tensor_operation6device12_GLOBAL__N_137kernel_grouped_conv_fwd_dl_multiple_dINS_32GridwiseGemmDlMultipleD_km_kn_mnILi256EDF16_fNS_5TupleIJDF16_EEEDF16_NS0_12element_wise11PassThroughES8_NS7_7AddReluELNS_25InMemoryDataOperationEnumE0ENS_16TensorDescriptorINS5_IJNS_5EmbedINS5_IJiiiEEESD_Lb0EEENS_11PassThroughIiEENS_3PadIiiiLb0EEESG_SG_NSC_INS5_IJiiEEESJ_Lb0EEESG_NS_23Merge_v2_magic_divisionISJ_EESM_NS_8RightPadIiiLb0EEESO_NS_7UnMergeISJ_Lb0EEESG_EEENS5_IJNS_8SequenceIJLi0EEEENSS_IJLi1EEEENSS_IJLi2EEEENSS_IJLi3EEEENSS_IJLi4EEEENSS_IJLi5EEEENSS_IJLi6EEEENSS_IJLi7ELi9EEEENSS_IJLi8ELi10EEEENSS_IJLi11EEEENSS_IJLi12EEEENSS_IJLi14EEEENSS_IJLi13EEEEEEENS5_IJNSS_IJLi1ELi2ELi3EEEESX_SY_SZ_NSS_IJLi7EEEENSS_IJLi8ELi9EEEENSS_IJLi10EEEES12_S13_S15_S14_NSS_IJLi15ELi16EEEENSS_IJLi17EEEEEEENSS_IJLi15ELi17ELi16EEEElEENSB_INS5_IJSQ_SO_SO_SQ_SG_EEENS5_IJST_SU_SV_SX_SW_EEENS5_IJNSS_IJLi1ELi2EEEESW_SX_NSS_IJLi5ELi6EEEES18_EEENSS_IJLi5ELi7ELi6EEEElEENSB_INS5_IJSK_SO_SO_EEENS5_IJST_SU_SV_EEENS5_IJS1I_SW_SX_EEENSS_IJLi3ELi4EEEElEELi128ELi128ELi16ELi2ELi4ELi4ELi1ENSS_IJLi8ELi2EEEES1S_NSS_IJLi8ELi1ELi1ELi2EEEENSS_IJLi2ELi1ELi128ELi1EEEENSS_IJLi1ELi2ELi0ELi3EEEES1V_NSS_IJLi4ELi1ELi1ELi2EEEES1V_NSS_IJLi1ELi1ELi1ELi2EEEES1T_S1U_S1V_S1V_S1W_S1V_S1X_NSS_IJLi0ELi1ELi2ELi3ELi4ELi5EEEELi5ELi4EEEDF16_NS5_IJPKDF16_EEEDF16_S8_S8_S9_NSB_INS5_IJSE_SG_SI_SG_SG_SK_SG_SM_SM_SO_SO_SQ_SG_SG_NSP_INS5_IJiNS_17integral_constantIiLi128EEEEEELb0EEENSF_INS23_IiLi2EEEEEEEENS5_IJST_SU_SV_SW_SX_SY_SZ_S10_S11_S12_S13_S14_S15_NSS_IJLi15EEEES1C_NSS_IJLi16EEEEEEENS5_IJS17_SX_SY_SZ_S18_S19_S1A_S12_S13_S15_S14_S1B_S1C_NSS_IJLi18EEEENSS_IJLi19ELi20EEEENSS_IJLi21EEEEEEENSS_IJLi18ELi19ELi20ELi21EEEElEENSB_INS5_IJSQ_SO_SO_SQ_SG_SG_S26_S28_EEENS5_IJST_SU_SV_SX_SW_SY_S18_SZ_EEENS5_IJS1I_SW_SX_S1J_S18_NSS_IJLi8EEEENSS_IJLi9ELi10EEEES12_EEENSS_IJLi8ELi9ELi10ELi11EEEElEENS5_IJNSB_INS5_IJSK_SO_SO_NSP_INS5_IJiS27_NS23_IiLi64EEEEEELb0EEES2S_EEENS5_IJST_SU_SV_SW_SX_EEENS5_IJS1I_SW_SX_NSS_IJLi5ELi6ELi7EEEENSS_IJLi8ELi9ELi10EEEEEEENSS_IJLi5ELi6ELi7ELi8ELi9ELi10EEEElEEEEES2Z_NS_31BlockToCTileMap_M00_N00_M01_N01ILi128ELi128ES1R_Lb0EEENS1_30ComputePtrOffsetOfStridedBatchILi1ELi1ELi1EvEELb1ELb0EEEvPKT0_S37_T1_PT2_T3_T4_T5_iT6_T7_T8_T9_T10_T11_,comdat
	.globl	_ZN2ck16tensor_operation6device12_GLOBAL__N_137kernel_grouped_conv_fwd_dl_multiple_dINS_32GridwiseGemmDlMultipleD_km_kn_mnILi256EDF16_fNS_5TupleIJDF16_EEEDF16_NS0_12element_wise11PassThroughES8_NS7_7AddReluELNS_25InMemoryDataOperationEnumE0ENS_16TensorDescriptorINS5_IJNS_5EmbedINS5_IJiiiEEESD_Lb0EEENS_11PassThroughIiEENS_3PadIiiiLb0EEESG_SG_NSC_INS5_IJiiEEESJ_Lb0EEESG_NS_23Merge_v2_magic_divisionISJ_EESM_NS_8RightPadIiiLb0EEESO_NS_7UnMergeISJ_Lb0EEESG_EEENS5_IJNS_8SequenceIJLi0EEEENSS_IJLi1EEEENSS_IJLi2EEEENSS_IJLi3EEEENSS_IJLi4EEEENSS_IJLi5EEEENSS_IJLi6EEEENSS_IJLi7ELi9EEEENSS_IJLi8ELi10EEEENSS_IJLi11EEEENSS_IJLi12EEEENSS_IJLi14EEEENSS_IJLi13EEEEEEENS5_IJNSS_IJLi1ELi2ELi3EEEESX_SY_SZ_NSS_IJLi7EEEENSS_IJLi8ELi9EEEENSS_IJLi10EEEES12_S13_S15_S14_NSS_IJLi15ELi16EEEENSS_IJLi17EEEEEEENSS_IJLi15ELi17ELi16EEEElEENSB_INS5_IJSQ_SO_SO_SQ_SG_EEENS5_IJST_SU_SV_SX_SW_EEENS5_IJNSS_IJLi1ELi2EEEESW_SX_NSS_IJLi5ELi6EEEES18_EEENSS_IJLi5ELi7ELi6EEEElEENSB_INS5_IJSK_SO_SO_EEENS5_IJST_SU_SV_EEENS5_IJS1I_SW_SX_EEENSS_IJLi3ELi4EEEElEELi128ELi128ELi16ELi2ELi4ELi4ELi1ENSS_IJLi8ELi2EEEES1S_NSS_IJLi8ELi1ELi1ELi2EEEENSS_IJLi2ELi1ELi128ELi1EEEENSS_IJLi1ELi2ELi0ELi3EEEES1V_NSS_IJLi4ELi1ELi1ELi2EEEES1V_NSS_IJLi1ELi1ELi1ELi2EEEES1T_S1U_S1V_S1V_S1W_S1V_S1X_NSS_IJLi0ELi1ELi2ELi3ELi4ELi5EEEELi5ELi4EEEDF16_NS5_IJPKDF16_EEEDF16_S8_S8_S9_NSB_INS5_IJSE_SG_SI_SG_SG_SK_SG_SM_SM_SO_SO_SQ_SG_SG_NSP_INS5_IJiNS_17integral_constantIiLi128EEEEEELb0EEENSF_INS23_IiLi2EEEEEEEENS5_IJST_SU_SV_SW_SX_SY_SZ_S10_S11_S12_S13_S14_S15_NSS_IJLi15EEEES1C_NSS_IJLi16EEEEEEENS5_IJS17_SX_SY_SZ_S18_S19_S1A_S12_S13_S15_S14_S1B_S1C_NSS_IJLi18EEEENSS_IJLi19ELi20EEEENSS_IJLi21EEEEEEENSS_IJLi18ELi19ELi20ELi21EEEElEENSB_INS5_IJSQ_SO_SO_SQ_SG_SG_S26_S28_EEENS5_IJST_SU_SV_SX_SW_SY_S18_SZ_EEENS5_IJS1I_SW_SX_S1J_S18_NSS_IJLi8EEEENSS_IJLi9ELi10EEEES12_EEENSS_IJLi8ELi9ELi10ELi11EEEElEENS5_IJNSB_INS5_IJSK_SO_SO_NSP_INS5_IJiS27_NS23_IiLi64EEEEEELb0EEES2S_EEENS5_IJST_SU_SV_SW_SX_EEENS5_IJS1I_SW_SX_NSS_IJLi5ELi6ELi7EEEENSS_IJLi8ELi9ELi10EEEEEEENSS_IJLi5ELi6ELi7ELi8ELi9ELi10EEEElEEEEES2Z_NS_31BlockToCTileMap_M00_N00_M01_N01ILi128ELi128ES1R_Lb0EEENS1_30ComputePtrOffsetOfStridedBatchILi1ELi1ELi1EvEELb1ELb0EEEvPKT0_S37_T1_PT2_T3_T4_T5_iT6_T7_T8_T9_T10_T11_ ; -- Begin function _ZN2ck16tensor_operation6device12_GLOBAL__N_137kernel_grouped_conv_fwd_dl_multiple_dINS_32GridwiseGemmDlMultipleD_km_kn_mnILi256EDF16_fNS_5TupleIJDF16_EEEDF16_NS0_12element_wise11PassThroughES8_NS7_7AddReluELNS_25InMemoryDataOperationEnumE0ENS_16TensorDescriptorINS5_IJNS_5EmbedINS5_IJiiiEEESD_Lb0EEENS_11PassThroughIiEENS_3PadIiiiLb0EEESG_SG_NSC_INS5_IJiiEEESJ_Lb0EEESG_NS_23Merge_v2_magic_divisionISJ_EESM_NS_8RightPadIiiLb0EEESO_NS_7UnMergeISJ_Lb0EEESG_EEENS5_IJNS_8SequenceIJLi0EEEENSS_IJLi1EEEENSS_IJLi2EEEENSS_IJLi3EEEENSS_IJLi4EEEENSS_IJLi5EEEENSS_IJLi6EEEENSS_IJLi7ELi9EEEENSS_IJLi8ELi10EEEENSS_IJLi11EEEENSS_IJLi12EEEENSS_IJLi14EEEENSS_IJLi13EEEEEEENS5_IJNSS_IJLi1ELi2ELi3EEEESX_SY_SZ_NSS_IJLi7EEEENSS_IJLi8ELi9EEEENSS_IJLi10EEEES12_S13_S15_S14_NSS_IJLi15ELi16EEEENSS_IJLi17EEEEEEENSS_IJLi15ELi17ELi16EEEElEENSB_INS5_IJSQ_SO_SO_SQ_SG_EEENS5_IJST_SU_SV_SX_SW_EEENS5_IJNSS_IJLi1ELi2EEEESW_SX_NSS_IJLi5ELi6EEEES18_EEENSS_IJLi5ELi7ELi6EEEElEENSB_INS5_IJSK_SO_SO_EEENS5_IJST_SU_SV_EEENS5_IJS1I_SW_SX_EEENSS_IJLi3ELi4EEEElEELi128ELi128ELi16ELi2ELi4ELi4ELi1ENSS_IJLi8ELi2EEEES1S_NSS_IJLi8ELi1ELi1ELi2EEEENSS_IJLi2ELi1ELi128ELi1EEEENSS_IJLi1ELi2ELi0ELi3EEEES1V_NSS_IJLi4ELi1ELi1ELi2EEEES1V_NSS_IJLi1ELi1ELi1ELi2EEEES1T_S1U_S1V_S1V_S1W_S1V_S1X_NSS_IJLi0ELi1ELi2ELi3ELi4ELi5EEEELi5ELi4EEEDF16_NS5_IJPKDF16_EEEDF16_S8_S8_S9_NSB_INS5_IJSE_SG_SI_SG_SG_SK_SG_SM_SM_SO_SO_SQ_SG_SG_NSP_INS5_IJiNS_17integral_constantIiLi128EEEEEELb0EEENSF_INS23_IiLi2EEEEEEEENS5_IJST_SU_SV_SW_SX_SY_SZ_S10_S11_S12_S13_S14_S15_NSS_IJLi15EEEES1C_NSS_IJLi16EEEEEEENS5_IJS17_SX_SY_SZ_S18_S19_S1A_S12_S13_S15_S14_S1B_S1C_NSS_IJLi18EEEENSS_IJLi19ELi20EEEENSS_IJLi21EEEEEEENSS_IJLi18ELi19ELi20ELi21EEEElEENSB_INS5_IJSQ_SO_SO_SQ_SG_SG_S26_S28_EEENS5_IJST_SU_SV_SX_SW_SY_S18_SZ_EEENS5_IJS1I_SW_SX_S1J_S18_NSS_IJLi8EEEENSS_IJLi9ELi10EEEES12_EEENSS_IJLi8ELi9ELi10ELi11EEEElEENS5_IJNSB_INS5_IJSK_SO_SO_NSP_INS5_IJiS27_NS23_IiLi64EEEEEELb0EEES2S_EEENS5_IJST_SU_SV_SW_SX_EEENS5_IJS1I_SW_SX_NSS_IJLi5ELi6ELi7EEEENSS_IJLi8ELi9ELi10EEEEEEENSS_IJLi5ELi6ELi7ELi8ELi9ELi10EEEElEEEEES2Z_NS_31BlockToCTileMap_M00_N00_M01_N01ILi128ELi128ES1R_Lb0EEENS1_30ComputePtrOffsetOfStridedBatchILi1ELi1ELi1EvEELb1ELb0EEEvPKT0_S37_T1_PT2_T3_T4_T5_iT6_T7_T8_T9_T10_T11_
	.p2align	8
	.type	_ZN2ck16tensor_operation6device12_GLOBAL__N_137kernel_grouped_conv_fwd_dl_multiple_dINS_32GridwiseGemmDlMultipleD_km_kn_mnILi256EDF16_fNS_5TupleIJDF16_EEEDF16_NS0_12element_wise11PassThroughES8_NS7_7AddReluELNS_25InMemoryDataOperationEnumE0ENS_16TensorDescriptorINS5_IJNS_5EmbedINS5_IJiiiEEESD_Lb0EEENS_11PassThroughIiEENS_3PadIiiiLb0EEESG_SG_NSC_INS5_IJiiEEESJ_Lb0EEESG_NS_23Merge_v2_magic_divisionISJ_EESM_NS_8RightPadIiiLb0EEESO_NS_7UnMergeISJ_Lb0EEESG_EEENS5_IJNS_8SequenceIJLi0EEEENSS_IJLi1EEEENSS_IJLi2EEEENSS_IJLi3EEEENSS_IJLi4EEEENSS_IJLi5EEEENSS_IJLi6EEEENSS_IJLi7ELi9EEEENSS_IJLi8ELi10EEEENSS_IJLi11EEEENSS_IJLi12EEEENSS_IJLi14EEEENSS_IJLi13EEEEEEENS5_IJNSS_IJLi1ELi2ELi3EEEESX_SY_SZ_NSS_IJLi7EEEENSS_IJLi8ELi9EEEENSS_IJLi10EEEES12_S13_S15_S14_NSS_IJLi15ELi16EEEENSS_IJLi17EEEEEEENSS_IJLi15ELi17ELi16EEEElEENSB_INS5_IJSQ_SO_SO_SQ_SG_EEENS5_IJST_SU_SV_SX_SW_EEENS5_IJNSS_IJLi1ELi2EEEESW_SX_NSS_IJLi5ELi6EEEES18_EEENSS_IJLi5ELi7ELi6EEEElEENSB_INS5_IJSK_SO_SO_EEENS5_IJST_SU_SV_EEENS5_IJS1I_SW_SX_EEENSS_IJLi3ELi4EEEElEELi128ELi128ELi16ELi2ELi4ELi4ELi1ENSS_IJLi8ELi2EEEES1S_NSS_IJLi8ELi1ELi1ELi2EEEENSS_IJLi2ELi1ELi128ELi1EEEENSS_IJLi1ELi2ELi0ELi3EEEES1V_NSS_IJLi4ELi1ELi1ELi2EEEES1V_NSS_IJLi1ELi1ELi1ELi2EEEES1T_S1U_S1V_S1V_S1W_S1V_S1X_NSS_IJLi0ELi1ELi2ELi3ELi4ELi5EEEELi5ELi4EEEDF16_NS5_IJPKDF16_EEEDF16_S8_S8_S9_NSB_INS5_IJSE_SG_SI_SG_SG_SK_SG_SM_SM_SO_SO_SQ_SG_SG_NSP_INS5_IJiNS_17integral_constantIiLi128EEEEEELb0EEENSF_INS23_IiLi2EEEEEEEENS5_IJST_SU_SV_SW_SX_SY_SZ_S10_S11_S12_S13_S14_S15_NSS_IJLi15EEEES1C_NSS_IJLi16EEEEEEENS5_IJS17_SX_SY_SZ_S18_S19_S1A_S12_S13_S15_S14_S1B_S1C_NSS_IJLi18EEEENSS_IJLi19ELi20EEEENSS_IJLi21EEEEEEENSS_IJLi18ELi19ELi20ELi21EEEElEENSB_INS5_IJSQ_SO_SO_SQ_SG_SG_S26_S28_EEENS5_IJST_SU_SV_SX_SW_SY_S18_SZ_EEENS5_IJS1I_SW_SX_S1J_S18_NSS_IJLi8EEEENSS_IJLi9ELi10EEEES12_EEENSS_IJLi8ELi9ELi10ELi11EEEElEENS5_IJNSB_INS5_IJSK_SO_SO_NSP_INS5_IJiS27_NS23_IiLi64EEEEEELb0EEES2S_EEENS5_IJST_SU_SV_SW_SX_EEENS5_IJS1I_SW_SX_NSS_IJLi5ELi6ELi7EEEENSS_IJLi8ELi9ELi10EEEEEEENSS_IJLi5ELi6ELi7ELi8ELi9ELi10EEEElEEEEES2Z_NS_31BlockToCTileMap_M00_N00_M01_N01ILi128ELi128ES1R_Lb0EEENS1_30ComputePtrOffsetOfStridedBatchILi1ELi1ELi1EvEELb1ELb0EEEvPKT0_S37_T1_PT2_T3_T4_T5_iT6_T7_T8_T9_T10_T11_,@function
_ZN2ck16tensor_operation6device12_GLOBAL__N_137kernel_grouped_conv_fwd_dl_multiple_dINS_32GridwiseGemmDlMultipleD_km_kn_mnILi256EDF16_fNS_5TupleIJDF16_EEEDF16_NS0_12element_wise11PassThroughES8_NS7_7AddReluELNS_25InMemoryDataOperationEnumE0ENS_16TensorDescriptorINS5_IJNS_5EmbedINS5_IJiiiEEESD_Lb0EEENS_11PassThroughIiEENS_3PadIiiiLb0EEESG_SG_NSC_INS5_IJiiEEESJ_Lb0EEESG_NS_23Merge_v2_magic_divisionISJ_EESM_NS_8RightPadIiiLb0EEESO_NS_7UnMergeISJ_Lb0EEESG_EEENS5_IJNS_8SequenceIJLi0EEEENSS_IJLi1EEEENSS_IJLi2EEEENSS_IJLi3EEEENSS_IJLi4EEEENSS_IJLi5EEEENSS_IJLi6EEEENSS_IJLi7ELi9EEEENSS_IJLi8ELi10EEEENSS_IJLi11EEEENSS_IJLi12EEEENSS_IJLi14EEEENSS_IJLi13EEEEEEENS5_IJNSS_IJLi1ELi2ELi3EEEESX_SY_SZ_NSS_IJLi7EEEENSS_IJLi8ELi9EEEENSS_IJLi10EEEES12_S13_S15_S14_NSS_IJLi15ELi16EEEENSS_IJLi17EEEEEEENSS_IJLi15ELi17ELi16EEEElEENSB_INS5_IJSQ_SO_SO_SQ_SG_EEENS5_IJST_SU_SV_SX_SW_EEENS5_IJNSS_IJLi1ELi2EEEESW_SX_NSS_IJLi5ELi6EEEES18_EEENSS_IJLi5ELi7ELi6EEEElEENSB_INS5_IJSK_SO_SO_EEENS5_IJST_SU_SV_EEENS5_IJS1I_SW_SX_EEENSS_IJLi3ELi4EEEElEELi128ELi128ELi16ELi2ELi4ELi4ELi1ENSS_IJLi8ELi2EEEES1S_NSS_IJLi8ELi1ELi1ELi2EEEENSS_IJLi2ELi1ELi128ELi1EEEENSS_IJLi1ELi2ELi0ELi3EEEES1V_NSS_IJLi4ELi1ELi1ELi2EEEES1V_NSS_IJLi1ELi1ELi1ELi2EEEES1T_S1U_S1V_S1V_S1W_S1V_S1X_NSS_IJLi0ELi1ELi2ELi3ELi4ELi5EEEELi5ELi4EEEDF16_NS5_IJPKDF16_EEEDF16_S8_S8_S9_NSB_INS5_IJSE_SG_SI_SG_SG_SK_SG_SM_SM_SO_SO_SQ_SG_SG_NSP_INS5_IJiNS_17integral_constantIiLi128EEEEEELb0EEENSF_INS23_IiLi2EEEEEEEENS5_IJST_SU_SV_SW_SX_SY_SZ_S10_S11_S12_S13_S14_S15_NSS_IJLi15EEEES1C_NSS_IJLi16EEEEEEENS5_IJS17_SX_SY_SZ_S18_S19_S1A_S12_S13_S15_S14_S1B_S1C_NSS_IJLi18EEEENSS_IJLi19ELi20EEEENSS_IJLi21EEEEEEENSS_IJLi18ELi19ELi20ELi21EEEElEENSB_INS5_IJSQ_SO_SO_SQ_SG_SG_S26_S28_EEENS5_IJST_SU_SV_SX_SW_SY_S18_SZ_EEENS5_IJS1I_SW_SX_S1J_S18_NSS_IJLi8EEEENSS_IJLi9ELi10EEEES12_EEENSS_IJLi8ELi9ELi10ELi11EEEElEENS5_IJNSB_INS5_IJSK_SO_SO_NSP_INS5_IJiS27_NS23_IiLi64EEEEEELb0EEES2S_EEENS5_IJST_SU_SV_SW_SX_EEENS5_IJS1I_SW_SX_NSS_IJLi5ELi6ELi7EEEENSS_IJLi8ELi9ELi10EEEEEEENSS_IJLi5ELi6ELi7ELi8ELi9ELi10EEEElEEEEES2Z_NS_31BlockToCTileMap_M00_N00_M01_N01ILi128ELi128ES1R_Lb0EEENS1_30ComputePtrOffsetOfStridedBatchILi1ELi1ELi1EvEELb1ELb0EEEvPKT0_S37_T1_PT2_T3_T4_T5_iT6_T7_T8_T9_T10_T11_: ; @_ZN2ck16tensor_operation6device12_GLOBAL__N_137kernel_grouped_conv_fwd_dl_multiple_dINS_32GridwiseGemmDlMultipleD_km_kn_mnILi256EDF16_fNS_5TupleIJDF16_EEEDF16_NS0_12element_wise11PassThroughES8_NS7_7AddReluELNS_25InMemoryDataOperationEnumE0ENS_16TensorDescriptorINS5_IJNS_5EmbedINS5_IJiiiEEESD_Lb0EEENS_11PassThroughIiEENS_3PadIiiiLb0EEESG_SG_NSC_INS5_IJiiEEESJ_Lb0EEESG_NS_23Merge_v2_magic_divisionISJ_EESM_NS_8RightPadIiiLb0EEESO_NS_7UnMergeISJ_Lb0EEESG_EEENS5_IJNS_8SequenceIJLi0EEEENSS_IJLi1EEEENSS_IJLi2EEEENSS_IJLi3EEEENSS_IJLi4EEEENSS_IJLi5EEEENSS_IJLi6EEEENSS_IJLi7ELi9EEEENSS_IJLi8ELi10EEEENSS_IJLi11EEEENSS_IJLi12EEEENSS_IJLi14EEEENSS_IJLi13EEEEEEENS5_IJNSS_IJLi1ELi2ELi3EEEESX_SY_SZ_NSS_IJLi7EEEENSS_IJLi8ELi9EEEENSS_IJLi10EEEES12_S13_S15_S14_NSS_IJLi15ELi16EEEENSS_IJLi17EEEEEEENSS_IJLi15ELi17ELi16EEEElEENSB_INS5_IJSQ_SO_SO_SQ_SG_EEENS5_IJST_SU_SV_SX_SW_EEENS5_IJNSS_IJLi1ELi2EEEESW_SX_NSS_IJLi5ELi6EEEES18_EEENSS_IJLi5ELi7ELi6EEEElEENSB_INS5_IJSK_SO_SO_EEENS5_IJST_SU_SV_EEENS5_IJS1I_SW_SX_EEENSS_IJLi3ELi4EEEElEELi128ELi128ELi16ELi2ELi4ELi4ELi1ENSS_IJLi8ELi2EEEES1S_NSS_IJLi8ELi1ELi1ELi2EEEENSS_IJLi2ELi1ELi128ELi1EEEENSS_IJLi1ELi2ELi0ELi3EEEES1V_NSS_IJLi4ELi1ELi1ELi2EEEES1V_NSS_IJLi1ELi1ELi1ELi2EEEES1T_S1U_S1V_S1V_S1W_S1V_S1X_NSS_IJLi0ELi1ELi2ELi3ELi4ELi5EEEELi5ELi4EEEDF16_NS5_IJPKDF16_EEEDF16_S8_S8_S9_NSB_INS5_IJSE_SG_SI_SG_SG_SK_SG_SM_SM_SO_SO_SQ_SG_SG_NSP_INS5_IJiNS_17integral_constantIiLi128EEEEEELb0EEENSF_INS23_IiLi2EEEEEEEENS5_IJST_SU_SV_SW_SX_SY_SZ_S10_S11_S12_S13_S14_S15_NSS_IJLi15EEEES1C_NSS_IJLi16EEEEEEENS5_IJS17_SX_SY_SZ_S18_S19_S1A_S12_S13_S15_S14_S1B_S1C_NSS_IJLi18EEEENSS_IJLi19ELi20EEEENSS_IJLi21EEEEEEENSS_IJLi18ELi19ELi20ELi21EEEElEENSB_INS5_IJSQ_SO_SO_SQ_SG_SG_S26_S28_EEENS5_IJST_SU_SV_SX_SW_SY_S18_SZ_EEENS5_IJS1I_SW_SX_S1J_S18_NSS_IJLi8EEEENSS_IJLi9ELi10EEEES12_EEENSS_IJLi8ELi9ELi10ELi11EEEElEENS5_IJNSB_INS5_IJSK_SO_SO_NSP_INS5_IJiS27_NS23_IiLi64EEEEEELb0EEES2S_EEENS5_IJST_SU_SV_SW_SX_EEENS5_IJS1I_SW_SX_NSS_IJLi5ELi6ELi7EEEENSS_IJLi8ELi9ELi10EEEEEEENSS_IJLi5ELi6ELi7ELi8ELi9ELi10EEEElEEEEES2Z_NS_31BlockToCTileMap_M00_N00_M01_N01ILi128ELi128ES1R_Lb0EEENS1_30ComputePtrOffsetOfStridedBatchILi1ELi1ELi1EvEELb1ELb0EEEvPKT0_S37_T1_PT2_T3_T4_T5_iT6_T7_T8_T9_T10_T11_
; %bb.0:
	s_clause 0x2
	s_load_b32 s2, s[0:1], 0x24
	s_load_b32 s4, s[0:1], 0x288
	s_load_b256 s[16:23], s[0:1], 0x260
	v_lshrrev_b32_e32 v5, 1, v0
	v_mov_b32_e32 v33, 0
	v_dual_mov_b32 v25, 0 :: v_dual_mov_b32 v22, 0
	v_dual_mov_b32 v51, 0 :: v_dual_mov_b32 v58, 0
	;; [unrolled: 1-line block ×8, first 2 shown]
	s_waitcnt lgkmcnt(0)
	s_abs_i32 s3, s2
	s_abs_i32 s7, s4
	v_cvt_f32_u32_e32 v1, s3
	s_sub_i32 s6, 0, s3
	s_xor_b32 s2, s4, s2
	v_dual_mov_b32 v61, 0 :: v_dual_mov_b32 v30, 0
	s_delay_alu instid0(VALU_DEP_2)
	v_rcp_iflag_f32_e32 v1, v1
	s_ashr_i32 s2, s2, 31
	v_dual_mov_b32 v17, 0 :: v_dual_mov_b32 v66, 0
	v_dual_mov_b32 v63, 0 :: v_dual_mov_b32 v36, 0
	;; [unrolled: 1-line block ×4, first 2 shown]
	s_waitcnt_depctr 0xfff
	v_mul_f32_e32 v1, 0x4f7ffffe, v1
	v_dual_mov_b32 v31, 0 :: v_dual_mov_b32 v70, 0
	v_dual_mov_b32 v67, 0 :: v_dual_mov_b32 v42, 0
	s_delay_alu instid0(VALU_DEP_3) | instskip(SKIP_2) | instid1(VALU_DEP_3)
	v_cvt_u32_f32_e32 v1, v1
	v_dual_mov_b32 v37, 0 :: v_dual_mov_b32 v72, 0
	v_dual_mov_b32 v69, 0 :: v_dual_mov_b32 v40, 0
	v_readfirstlane_b32 s5, v1
	v_dual_mov_b32 v39, 0 :: v_dual_mov_b32 v74, 0
	v_dual_mov_b32 v71, 0 :: v_dual_mov_b32 v44, 0
	s_delay_alu instid0(VALU_DEP_3)
	s_mul_i32 s6, s6, s5
	v_dual_mov_b32 v43, 0 :: v_dual_mov_b32 v76, 0
	s_mul_hi_u32 s6, s5, s6
	v_dual_mov_b32 v73, 0 :: v_dual_mov_b32 v50, 0
	s_add_i32 s5, s5, s6
	v_dual_mov_b32 v41, 0 :: v_dual_mov_b32 v78, 0
	s_mul_hi_u32 s5, s7, s5
	v_dual_mov_b32 v75, 0 :: v_dual_mov_b32 v54, 0
	s_mul_i32 s4, s5, s3
	s_add_i32 s6, s5, 1
	s_sub_i32 s4, s7, s4
	v_dual_mov_b32 v45, 0 :: v_dual_mov_b32 v32, 0
	s_sub_i32 s7, s4, s3
	s_cmp_ge_u32 s4, s3
	v_dual_mov_b32 v77, 0 :: v_dual_mov_b32 v56, 0
	s_cselect_b32 s5, s6, s5
	s_cselect_b32 s4, s7, s4
	s_add_i32 s6, s5, 1
	s_cmp_ge_u32 s4, s3
	v_dual_mov_b32 v49, 0 :: v_dual_mov_b32 v28, 0
	s_cselect_b32 s3, s6, s5
	s_abs_i32 s6, s15
	s_xor_b32 s3, s3, s2
	s_mov_b32 s53, 0
	s_sub_i32 s2, s3, s2
	s_mov_b32 s54, 0
	s_abs_i32 s3, s2
	s_xor_b32 s2, s15, s2
	v_cvt_f32_u32_e32 v1, s3
	s_sub_i32 s5, 0, s3
	s_ashr_i32 s2, s2, 31
	v_dual_mov_b32 v46, 0 :: v_dual_mov_b32 v27, 0
	s_delay_alu instid0(VALU_DEP_2)
	v_rcp_iflag_f32_e32 v1, v1
	v_mov_b32_e32 v48, 0
	v_mov_b32_e32 v26, 0
	;; [unrolled: 1-line block ×4, first 2 shown]
	v_dual_mov_b32 v20, 0 :: v_dual_mov_b32 v47, 0
	s_waitcnt_depctr 0xfff
	v_mul_f32_e32 v1, 0x4f7ffffe, v1
	s_delay_alu instid0(VALU_DEP_1) | instskip(NEXT) | instid1(VALU_DEP_1)
	v_cvt_u32_f32_e32 v1, v1
	v_readfirstlane_b32 s4, v1
	v_lshlrev_b32_e32 v1, 3, v0
	s_delay_alu instid0(VALU_DEP_2) | instskip(NEXT) | instid1(VALU_DEP_1)
	s_mul_i32 s5, s5, s4
	v_and_b32_e32 v4, 8, v1
	s_mul_hi_u32 s5, s4, s5
	s_delay_alu instid0(SALU_CYCLE_1) | instskip(NEXT) | instid1(SALU_CYCLE_1)
	s_add_i32 s4, s4, s5
	s_mul_hi_u32 s4, s6, s4
	s_delay_alu instid0(VALU_DEP_1)
	v_or_b32_e32 v12, 20, v4
	s_mul_i32 s5, s4, s3
	v_or_b32_e32 v14, 36, v4
	s_sub_i32 s5, s6, s5
	s_add_i32 s6, s4, 1
	s_sub_i32 s7, s5, s3
	s_cmp_ge_u32 s5, s3
	v_or_b32_e32 v13, 32, v4
	s_cselect_b32 s4, s6, s4
	s_cselect_b32 s5, s7, s5
	s_add_i32 s6, s4, 1
	s_cmp_ge_u32 s5, s3
	s_cselect_b32 s3, s6, s4
	s_clause 0x3
	s_load_b128 s[4:7], s[0:1], 0x0
	s_load_b64 s[42:43], s[0:1], 0x18
	s_load_b128 s[24:27], s[0:1], 0x234
	s_load_b128 s[8:11], s[0:1], 0x248
	s_xor_b32 s3, s3, s2
	s_delay_alu instid0(SALU_CYCLE_1) | instskip(NEXT) | instid1(SALU_CYCLE_1)
	s_sub_i32 s47, s3, s2
	s_ashr_i32 s48, s47, 31
	s_mul_hi_u32 s3, s16, s47
	s_mul_i32 s2, s16, s47
	s_mul_i32 s16, s16, s48
	;; [unrolled: 1-line block ×3, first 2 shown]
	s_add_i32 s3, s3, s16
	s_mul_hi_u32 s14, s18, s47
	s_mul_i32 s17, s19, s47
	s_mul_i32 s12, s18, s47
	s_mul_hi_u32 s19, s22, s47
	s_mul_i32 s18, s18, s48
	s_mul_i32 s28, s22, s48
	s_add_i32 s3, s3, s13
	s_mul_i32 s23, s23, s47
	s_add_i32 s14, s14, s18
	s_add_i32 s16, s19, s28
	s_lshl_b64 s[2:3], s[2:3], 1
	s_add_i32 s13, s14, s17
	s_add_i32 s23, s16, s23
	s_waitcnt lgkmcnt(0)
	s_add_u32 s16, s4, s2
	s_addc_u32 s17, s5, s3
	s_lshl_b64 s[2:3], s[12:13], 1
	s_mul_hi_u32 s4, s27, s15
	s_add_u32 s12, s6, s2
	s_addc_u32 s13, s7, s3
	s_add_i32 s2, s15, s4
	s_mul_i32 s22, s22, s47
	s_lshr_b32 s3, s2, s11
	s_delay_alu instid0(SALU_CYCLE_1) | instskip(NEXT) | instid1(SALU_CYCLE_1)
	s_mul_hi_u32 s2, s3, s26
	s_add_i32 s4, s3, s2
	s_load_b32 s2, s[0:1], 0xc4
	s_lshr_b32 s11, s4, s10
	s_clause 0x2
	s_load_b32 s14, s[0:1], 0x204
	s_load_b32 s18, s[0:1], 0x214
	s_load_b128 s[4:7], s[0:1], 0x220
	s_mul_hi_u32 s10, s11, s25
	s_clause 0x5
	s_load_b32 s19, s[0:1], 0x78
	s_load_b32 s34, s[0:1], 0x80
	;; [unrolled: 1-line block ×6, first 2 shown]
	s_add_i32 s10, s11, s10
	s_delay_alu instid0(SALU_CYCLE_1)
	s_lshr_b32 s35, s10, s9
	s_clause 0x5
	s_load_b32 s9, s[0:1], 0xd0
	s_load_b32 s36, s[0:1], 0xe8
	;; [unrolled: 1-line block ×6, first 2 shown]
	s_mul_hi_u32 s24, s35, s24
	s_delay_alu instid0(SALU_CYCLE_1) | instskip(NEXT) | instid1(SALU_CYCLE_1)
	s_add_i32 s24, s35, s24
	s_lshr_b32 s8, s24, s8
	s_load_b256 s[24:31], s[0:1], 0x34
	s_waitcnt lgkmcnt(0)
	s_sub_i32 s57, 0, s49
	s_mul_i32 s8, s8, s4
	s_mul_i32 s4, s11, s6
	s_sub_i32 s6, s35, s8
	s_mul_i32 s35, s35, s5
	s_sub_i32 s33, s3, s4
	;; [unrolled: 2-line block ×3, first 2 shown]
	s_sub_i32 s46, s15, s3
	s_load_b32 s3, s[0:1], 0x148
	s_mul_i32 s5, s5, s18
	s_mul_i32 s6, s6, s14
	s_add_i32 s46, s46, s5
	s_lshl_b32 s18, s36, 1
	v_lshl_or_b32 v112, s46, 7, v5
	s_add_i32 s33, s33, s6
	s_clause 0x1
	s_load_b64 s[44:45], s[0:1], 0x60
	s_load_b32 s4, s[0:1], 0x70
	v_lshl_or_b32 v110, s33, 7, v5
	v_mul_lo_u32 v111, s10, v4
	v_mul_lo_u32 v113, v112, s37
	s_load_b64 s[36:37], s[0:1], 0x1e8
	s_waitcnt lgkmcnt(0)
	s_load_b32 s37, s[0:1], 0xb4
	v_mul_lo_u32 v15, s2, v4
	v_mul_hi_u32 v3, v110, s19
	s_lshl_b32 s58, s2, 2
	s_lshl_b32 s5, s10, 2
	s_mov_b32 s19, 0x31004000
	s_clause 0x2
	s_load_b64 s[38:39], s[0:1], 0x158
	s_load_b32 s27, s[0:1], 0x164
	s_load_b32 s31, s[0:1], 0x170
	s_mov_b32 s15, s19
	s_lshl_b32 s14, s3, 1
	v_mul_hi_u32 v1, v15, s50
	v_add_nc_u32_e32 v2, s58, v15
	v_add_nc_u32_e32 v3, v110, v3
	s_sub_i32 s28, s28, s30
	v_cmp_gt_i32_e32 vcc_lo, s60, v112
	v_lshlrev_b32_e32 v5, 2, v5
	s_mul_i32 s6, s2, 12
	v_lshrrev_b32_e32 v8, s34, v3
	v_add_nc_u32_e32 v1, v15, v1
	s_sub_i32 s30, s9, 32
	s_lshl_b32 s55, s10, 6
	s_waitcnt lgkmcnt(0)
	v_cmp_gt_i32_e64 s3, s37, v15
	v_mul_lo_u32 v9, v8, s4
	v_lshrrev_b32_e32 v6, s51, v1
	v_mul_hi_u32 v1, v2, s50
	v_mul_lo_u32 v8, v8, s24
	v_cmp_gt_i32_e64 s4, s52, v111
	s_add_i32 s58, s58, s6
	v_mul_lo_u32 v3, v6, s44
	v_mul_lo_u32 v7, v6, s49
	v_sub_nc_u32_e32 v9, v110, v9
	s_lshl_b32 s56, s2, 5
	v_add_nc_u32_e32 v1, v2, v1
	s_delay_alu instid0(VALU_DEP_2) | instskip(NEXT) | instid1(VALU_DEP_2)
	v_mad_u64_u32 v[91:92], null, v9, s45, v[3:4]
	v_lshrrev_b32_e32 v1, s51, v1
	v_sub_nc_u32_e32 v7, v15, v7
	s_mov_b32 s45, 0
	s_delay_alu instid0(VALU_DEP_2)
	v_mul_lo_u32 v10, v1, s49
	v_sub_nc_u32_e32 v3, v1, v6
	v_subrev_nc_u32_e32 v9, s29, v91
	v_mul_lo_u32 v6, v7, s26
	v_cmp_le_i32_e64 s7, s29, v91
	v_cmp_gt_i32_e64 s8, s28, v91
	v_mul_lo_u32 v114, v3, s44
	v_mul_lo_u32 v9, v9, s25
	v_sub_nc_u32_e32 v92, v2, v10
	v_add_nc_u32_e32 v3, v113, v111
	v_add_nc_u32_e32 v111, s5, v111
	s_and_b32 s7, s7, s8
	s_delay_alu instid0(VALU_DEP_3)
	v_sub_nc_u32_e32 v7, v92, v7
	v_mul_lo_u32 v11, v114, s25
	v_add3_u32 v6, v8, v6, v9
	v_lshlrev_b32_e32 v10, 1, v3
	v_add_lshl_u32 v3, v3, s5, 1
	v_mul_lo_u32 v7, v7, s26
	v_mul_lo_u32 v9, s10, v12
	;; [unrolled: 1-line block ×3, first 2 shown]
	s_clause 0x1
	buffer_load_b128 v[94:97], v10, s[12:15], 0 offen
	buffer_load_b128 v[98:101], v3, s[12:15], 0 offen
	v_lshlrev_b32_e32 v3, 1, v6
	v_cmp_gt_i32_e64 s6, s52, v111
	v_cmp_gt_i32_e64 s5, s37, v2
	v_add3_u32 v93, v7, v11, v6
	v_or_b32_e32 v11, 16, v4
	v_mov_b32_e32 v89, v12
	s_and_b32 s7, s3, s7
	s_and_b32 s3, s4, vcc_lo
	v_lshlrev_b32_e32 v6, 1, v93
	s_clause 0x1
	buffer_load_b128 v[102:105], v3, s[16:19], 0 offen
	buffer_load_b128 v[106:109], v6, s[16:19], 0 offen
	v_lshrrev_b32_e32 v6, 5, v0
	v_lshlrev_b32_e32 v3, 1, v0
	v_mul_lo_u32 v10, s10, v11
	v_mul_lo_u32 v11, s2, v11
	v_mov_b32_e32 v79, 0
	v_lshlrev_b32_e32 v7, 6, v6
	v_and_b32_e32 v8, 0x1f8, v3
	v_and_b32_e32 v3, 0x1fc, v3
	v_lshlrev_b32_e32 v0, 2, v0
	s_clause 0x3
	s_load_b64 s[40:41], s[0:1], 0x198
	s_load_b64 s[34:35], s[0:1], 0x1a8
	s_load_b32 s11, s[0:1], 0x1b4
	s_load_b32 s24, s[0:1], 0x1c0
	s_waitcnt lgkmcnt(0)
	s_lshl_b32 s41, s10, 5
	v_mov_b32_e32 v90, v11
	v_sub_nc_u32_e32 v7, v8, v7
	v_sub_nc_u32_e32 v8, v3, v8
	v_lshl_or_b32 v3, v4, 9, v5
	v_lshlrev_b32_e32 v85, 1, v9
	s_delay_alu instid0(VALU_DEP_4)
	v_and_or_b32 v82, v0, 4, v7
	v_add_nc_u32_e32 v0, v91, v114
	v_lshl_add_u32 v83, v6, 3, v8
	v_mul_lo_u32 v7, s10, v14
	v_mul_lo_u32 v8, s10, v13
	;; [unrolled: 1-line block ×4, first 2 shown]
	v_cmp_le_i32_e64 s9, s29, v0
	v_cmp_gt_i32_e64 s10, s28, v0
	v_cmp_gt_i32_e64 s2, s59, v110
	v_dual_mov_b32 v55, 0 :: v_dual_lshlrev_b32 v80, 2, v83
	v_dual_mov_b32 v29, 0 :: v_dual_lshlrev_b32 v84, 1, v8
	s_delay_alu instid0(VALU_DEP_4)
	s_and_b32 s8, s9, s10
	v_or_b32_e32 v4, 0x4000, v3
	s_and_b32 s5, s5, s8
	v_or_b32_e32 v5, 0x2000, v3
	v_or_b32_e32 v6, 0x6000, v3
	v_lshlrev_b32_e32 v81, 2, v82
	v_lshlrev_b32_e32 v15, 1, v7
	v_dual_mov_b32 v87, v14 :: v_dual_lshlrev_b32 v86, 1, v10
	v_dual_mov_b32 v88, v13 :: v_dual_lshlrev_b32 v91, 1, v113
	s_waitcnt vmcnt(3)
	v_cndmask_b32_e64 v95, 0, v95, s3
	v_cndmask_b32_e64 v94, 0, v94, s3
	;; [unrolled: 1-line block ×4, first 2 shown]
	s_and_b32 s3, s6, vcc_lo
	ds_store_2addr_stride64_b32 v3, v94, v95 offset0:64 offset1:66
	ds_store_2addr_stride64_b32 v3, v96, v97 offset0:68 offset1:70
	s_waitcnt vmcnt(2)
	v_cndmask_b32_e64 v101, 0, v101, s3
	v_cndmask_b32_e64 v100, 0, v100, s3
	;; [unrolled: 1-line block ×4, first 2 shown]
	s_and_b32 s3, s2, s7
	s_waitcnt vmcnt(1)
	v_cndmask_b32_e64 v94, 0, v105, s3
	v_cndmask_b32_e64 v95, 0, v104, s3
	;; [unrolled: 1-line block ×4, first 2 shown]
	s_and_b32 s3, s2, s5
	s_waitcnt vmcnt(0)
	v_cndmask_b32_e64 v103, 0, v107, s3
	v_cndmask_b32_e64 v104, 0, v106, s3
	;; [unrolled: 1-line block ×4, first 2 shown]
	ds_store_2addr_stride64_b32 v3, v98, v99 offset0:72 offset1:74
	ds_store_2addr_stride64_b32 v3, v97, v96 offset1:2
	ds_store_2addr_stride64_b32 v3, v95, v94 offset0:4 offset1:6
	ds_store_2addr_stride64_b32 v3, v104, v103 offset0:8 offset1:10
	;; [unrolled: 1-line block ×4, first 2 shown]
.LBB2_1:                                ; =>This Inner Loop Header: Depth=1
	v_mul_hi_u32 v96, s50, v90
	v_add_nc_u32_e32 v97, s45, v11
	v_mul_hi_u32 v103, s50, v89
	v_add_nc_u32_e32 v107, s53, v10
	v_mul_hi_u32 v95, s50, v88
	v_mul_hi_u32 v94, s50, v87
	v_cmp_gt_i32_e64 s3, s37, v97
	v_add3_u32 v2, s58, s58, v2
	v_add_nc_u32_e32 v96, v97, v96
	v_add_nc_u32_e32 v90, s56, v90
	;; [unrolled: 1-line block ×3, first 2 shown]
	s_add_i32 s54, s54, 32
	v_add_nc_u32_e32 v89, s56, v89
	v_lshrrev_b32_e32 v104, s51, v96
	v_add_nc_u32_e32 v87, s56, v87
	s_delay_alu instid0(VALU_DEP_2) | instskip(SKIP_1) | instid1(VALU_DEP_1)
	v_mul_lo_u32 v96, s57, v104
	v_sub_nc_u32_e32 v1, v104, v1
	v_mul_lo_u32 v1, v1, s44
	s_delay_alu instid0(VALU_DEP_3) | instskip(SKIP_1) | instid1(VALU_DEP_2)
	v_sub_nc_u32_e32 v92, v96, v92
	v_add_nc_u32_e32 v105, v97, v96
	v_add_nc_u32_e32 v92, v97, v92
	s_delay_alu instid0(VALU_DEP_4) | instskip(SKIP_1) | instid1(VALU_DEP_3)
	v_add_nc_u32_e32 v106, v1, v0
	v_mul_lo_u32 v0, v1, s25
	v_mul_lo_u32 v1, v92, s26
	s_delay_alu instid0(VALU_DEP_3) | instskip(SKIP_1) | instid1(VALU_DEP_1)
	v_cmp_le_i32_e64 s4, s29, v106
	v_cmp_gt_i32_e64 s5, s28, v106
	s_and_b32 s4, s4, s5
	s_delay_alu instid0(VALU_DEP_3) | instskip(SKIP_1) | instid1(SALU_CYCLE_1)
	v_add3_u32 v93, v0, v93, v1
	s_and_b32 s3, s3, s4
	s_and_b32 s3, s2, s3
	s_delay_alu instid0(VALU_DEP_1)
	v_lshlrev_b32_e32 v0, 1, v93
	buffer_load_b128 v[99:102], v0, s[16:19], 0 offen
	s_waitcnt vmcnt(0)
	v_cndmask_b32_e64 v98, 0, v100, s3
	v_add_nc_u32_e32 v100, s45, v12
	v_cndmask_b32_e64 v96, 0, v102, s3
	v_cndmask_b32_e64 v97, 0, v101, s3
	;; [unrolled: 1-line block ×3, first 2 shown]
	s_delay_alu instid0(VALU_DEP_4) | instskip(SKIP_1) | instid1(VALU_DEP_2)
	v_add_nc_u32_e32 v0, v100, v103
	v_cmp_gt_i32_e64 s3, s37, v100
	v_lshrrev_b32_e32 v92, s51, v0
	s_delay_alu instid0(VALU_DEP_1) | instskip(SKIP_1) | instid1(VALU_DEP_1)
	v_mad_u64_u32 v[0:1], null, s57, v92, v[100:101]
	v_sub_nc_u32_e32 v1, v92, v104
	v_mul_lo_u32 v102, v1, s44
	s_delay_alu instid0(VALU_DEP_3) | instskip(NEXT) | instid1(VALU_DEP_1)
	v_sub_nc_u32_e32 v101, v0, v105
	v_mul_lo_u32 v101, v101, s26
	s_delay_alu instid0(VALU_DEP_3) | instskip(SKIP_1) | instid1(VALU_DEP_2)
	v_add_nc_u32_e32 v1, v102, v106
	v_mul_lo_u32 v102, v102, s25
	v_cmp_le_i32_e64 s4, s29, v1
	v_cmp_gt_i32_e64 s5, s28, v1
	s_delay_alu instid0(VALU_DEP_3) | instskip(NEXT) | instid1(VALU_DEP_2)
	v_add3_u32 v93, v93, v102, v101
	s_and_b32 s4, s4, s5
	s_delay_alu instid0(SALU_CYCLE_1) | instskip(NEXT) | instid1(VALU_DEP_1)
	s_and_b32 s3, s3, s4
	v_lshlrev_b32_e32 v101, 1, v93
	s_and_b32 s3, s2, s3
	buffer_load_b128 v[103:106], v101, s[16:19], 0 offen
	s_waitcnt vmcnt(0)
	v_cndmask_b32_e64 v102, 0, v104, s3
	v_add_nc_u32_e32 v104, v86, v91
	v_cndmask_b32_e64 v100, 0, v106, s3
	v_cndmask_b32_e64 v101, 0, v105, s3
	;; [unrolled: 1-line block ×3, first 2 shown]
	v_cmp_gt_i32_e64 s3, s52, v107
	buffer_load_b128 v[107:110], v104, s[12:15], 0 offen
	s_and_b32 s3, vcc_lo, s3
	s_waitcnt vmcnt(0)
	v_cndmask_b32_e64 v105, 0, v109, s3
	v_add_nc_u32_e32 v109, v85, v91
	v_cndmask_b32_e64 v106, 0, v108, s3
	v_add_nc_u32_e32 v108, s53, v9
	v_cndmask_b32_e64 v104, 0, v110, s3
	v_cndmask_b32_e64 v107, 0, v107, s3
	buffer_load_b128 v[111:114], v109, s[12:15], 0 offen
	s_waitcnt lgkmcnt(0)
	v_cmp_gt_i32_e64 s3, s52, v108
	s_waitcnt vmcnt(0)
	s_barrier
	s_delay_alu instid0(VALU_DEP_1) | instskip(NEXT) | instid1(SALU_CYCLE_1)
	s_and_b32 s3, vcc_lo, s3
	v_cndmask_b32_e64 v108, 0, v114, s3
	v_cndmask_b32_e64 v109, 0, v113, s3
	;; [unrolled: 1-line block ×3, first 2 shown]
	ds_load_b128 v[112:115], v80
	ds_load_b128 v[116:119], v81 offset:16384
	ds_load_b128 v[120:123], v81 offset:16640
	;; [unrolled: 1-line block ×3, first 2 shown]
	v_cndmask_b32_e64 v111, 0, v111, s3
	s_waitcnt lgkmcnt(2)
	v_dot2acc_f32_f16 v71, v114, v116
	v_dot2acc_f32_f16 v79, v112, v116
	;; [unrolled: 1-line block ×13, first 2 shown]
	s_waitcnt lgkmcnt(1)
	v_dual_dot2acc_f32_f16 v66, v115, v117 :: v_dual_dot2acc_f32_f16 v77, v112, v120
	v_dot2acc_f32_f16 v31, v115, v118
	v_dual_dot2acc_f32_f16 v30, v115, v119 :: v_dual_dot2acc_f32_f16 v45, v112, v122
	v_dual_dot2acc_f32_f16 v76, v112, v121 :: v_dual_dot2acc_f32_f16 v73, v113, v120
	v_dual_dot2acc_f32_f16 v44, v112, v123 :: v_dual_dot2acc_f32_f16 v69, v114, v120
	v_dual_dot2acc_f32_f16 v72, v113, v121 :: v_dual_dot2acc_f32_f16 v37, v114, v122
	v_dual_dot2acc_f32_f16 v42, v113, v122 :: v_dual_dot2acc_f32_f16 v65, v115, v120
	v_dual_dot2acc_f32_f16 v43, v113, v123 :: v_dual_dot2acc_f32_f16 v68, v114, v121
	v_dual_dot2acc_f32_f16 v36, v114, v123 :: v_dual_dot2acc_f32_f16 v35, v115, v122
	s_waitcnt lgkmcnt(0)
	v_dual_dot2acc_f32_f16 v64, v115, v121 :: v_dual_dot2acc_f32_f16 v63, v124, v116
	v_dual_dot2acc_f32_f16 v34, v115, v123 :: v_dual_dot2acc_f32_f16 v17, v124, v118
	ds_load_b128 v[112:115], v80 offset:512
	v_dual_dot2acc_f32_f16 v62, v124, v117 :: v_dual_dot2acc_f32_f16 v59, v125, v116
	v_dual_dot2acc_f32_f16 v16, v124, v119 :: v_dual_dot2acc_f32_f16 v23, v125, v118
	v_dual_dot2acc_f32_f16 v58, v125, v117 :: v_dual_dot2acc_f32_f16 v25, v126, v118
	v_dual_dot2acc_f32_f16 v22, v125, v119 :: v_dual_dot2acc_f32_f16 v51, v126, v117
	v_dual_dot2acc_f32_f16 v52, v126, v116 :: v_dual_dot2acc_f32_f16 v33, v127, v119
	v_dual_dot2acc_f32_f16 v24, v126, v119 :: v_dual_dot2acc_f32_f16 v61, v124, v120
	v_dual_dot2acc_f32_f16 v46, v127, v116 :: v_dual_dot2acc_f32_f16 v19, v124, v123
	v_dual_dot2acc_f32_f16 v54, v127, v117 :: v_dual_dot2acc_f32_f16 v57, v125, v120
	v_dual_dot2acc_f32_f16 v32, v127, v118 :: v_dual_dot2acc_f32_f16 v53, v125, v121
	ds_load_b128 v[116:119], v81 offset:16896
	v_dual_dot2acc_f32_f16 v60, v124, v121 :: v_dual_dot2acc_f32_f16 v21, v125, v122
	v_dual_dot2acc_f32_f16 v18, v124, v122 :: v_dual_dot2acc_f32_f16 v47, v126, v121
	v_dual_dot2acc_f32_f16 v20, v125, v123 :: v_dual_dot2acc_f32_f16 v27, v126, v122
	v_dual_dot2acc_f32_f16 v48, v126, v120 :: v_dual_dot2acc_f32_f16 v29, v127, v123
	v_dual_dot2acc_f32_f16 v26, v126, v123 :: v_dual_dot2acc_f32_f16 v55, v127, v120
	v_dot2acc_f32_f16 v56, v127, v121
	v_dot2acc_f32_f16 v28, v127, v122
	ds_load_b128 v[120:123], v81 offset:17152
	ds_load_b128 v[124:127], v80 offset:768
	s_waitcnt lgkmcnt(2)
	v_dot2acc_f32_f16 v49, v112, v119
	v_dot2acc_f32_f16 v79, v112, v116
	v_dual_dot2acc_f32_f16 v78, v112, v117 :: v_dual_dot2acc_f32_f16 v75, v113, v116
	v_dual_dot2acc_f32_f16 v50, v112, v118 :: v_dual_dot2acc_f32_f16 v71, v114, v116
	v_dual_dot2acc_f32_f16 v74, v113, v117 :: v_dual_dot2acc_f32_f16 v39, v114, v119
	v_dual_dot2acc_f32_f16 v41, v113, v118 :: v_dual_dot2acc_f32_f16 v70, v114, v117
	v_dual_dot2acc_f32_f16 v40, v113, v119 :: v_dual_dot2acc_f32_f16 v67, v115, v116
	s_waitcnt lgkmcnt(1)
	v_dual_dot2acc_f32_f16 v38, v114, v118 :: v_dual_dot2acc_f32_f16 v77, v112, v120
	v_dual_dot2acc_f32_f16 v66, v115, v117 :: v_dual_dot2acc_f32_f16 v45, v112, v122
	v_dual_dot2acc_f32_f16 v31, v115, v118 :: v_dual_dot2acc_f32_f16 v76, v112, v121
	v_dual_dot2acc_f32_f16 v30, v115, v119 :: v_dual_dot2acc_f32_f16 v73, v113, v120
	v_dual_dot2acc_f32_f16 v44, v112, v123 :: v_dual_dot2acc_f32_f16 v69, v114, v120
	v_dual_dot2acc_f32_f16 v72, v113, v121 :: v_dual_dot2acc_f32_f16 v37, v114, v122
	v_dual_dot2acc_f32_f16 v42, v113, v122 :: v_dual_dot2acc_f32_f16 v65, v115, v120
	v_dual_dot2acc_f32_f16 v43, v113, v123 :: v_dual_dot2acc_f32_f16 v68, v114, v121
	v_dual_dot2acc_f32_f16 v36, v114, v123 :: v_dual_dot2acc_f32_f16 v35, v115, v122
	s_waitcnt lgkmcnt(0)
	v_dual_dot2acc_f32_f16 v64, v115, v121 :: v_dual_dot2acc_f32_f16 v63, v124, v116
	v_dual_dot2acc_f32_f16 v34, v115, v123 :: v_dual_dot2acc_f32_f16 v17, v124, v118
	ds_load_b128 v[112:115], v80 offset:1024
	v_dual_dot2acc_f32_f16 v62, v124, v117 :: v_dual_dot2acc_f32_f16 v59, v125, v116
	v_dual_dot2acc_f32_f16 v16, v124, v119 :: v_dual_dot2acc_f32_f16 v23, v125, v118
	v_dual_dot2acc_f32_f16 v58, v125, v117 :: v_dual_dot2acc_f32_f16 v25, v126, v118
	v_dual_dot2acc_f32_f16 v22, v125, v119 :: v_dual_dot2acc_f32_f16 v51, v126, v117
	v_dual_dot2acc_f32_f16 v52, v126, v116 :: v_dual_dot2acc_f32_f16 v33, v127, v119
	v_dual_dot2acc_f32_f16 v24, v126, v119 :: v_dual_dot2acc_f32_f16 v61, v124, v120
	v_dual_dot2acc_f32_f16 v46, v127, v116 :: v_dual_dot2acc_f32_f16 v19, v124, v123
	v_dual_dot2acc_f32_f16 v54, v127, v117 :: v_dual_dot2acc_f32_f16 v57, v125, v120
	v_dual_dot2acc_f32_f16 v32, v127, v118 :: v_dual_dot2acc_f32_f16 v53, v125, v121
	ds_load_b128 v[116:119], v81 offset:17408
	v_dual_dot2acc_f32_f16 v60, v124, v121 :: v_dual_dot2acc_f32_f16 v21, v125, v122
	v_dual_dot2acc_f32_f16 v18, v124, v122 :: v_dual_dot2acc_f32_f16 v47, v126, v121
	v_dual_dot2acc_f32_f16 v20, v125, v123 :: v_dual_dot2acc_f32_f16 v27, v126, v122
	v_dual_dot2acc_f32_f16 v48, v126, v120 :: v_dual_dot2acc_f32_f16 v29, v127, v123
	v_dual_dot2acc_f32_f16 v26, v126, v123 :: v_dual_dot2acc_f32_f16 v55, v127, v120
	v_dot2acc_f32_f16 v56, v127, v121
	v_dot2acc_f32_f16 v28, v127, v122
	ds_load_b128 v[120:123], v81 offset:17664
	ds_load_b128 v[124:127], v80 offset:1280
	s_waitcnt lgkmcnt(2)
	v_dot2acc_f32_f16 v49, v112, v119
	v_dot2acc_f32_f16 v79, v112, v116
	v_dual_dot2acc_f32_f16 v78, v112, v117 :: v_dual_dot2acc_f32_f16 v75, v113, v116
	v_dual_dot2acc_f32_f16 v50, v112, v118 :: v_dual_dot2acc_f32_f16 v71, v114, v116
	v_dual_dot2acc_f32_f16 v74, v113, v117 :: v_dual_dot2acc_f32_f16 v39, v114, v119
	v_dual_dot2acc_f32_f16 v41, v113, v118 :: v_dual_dot2acc_f32_f16 v70, v114, v117
	v_dual_dot2acc_f32_f16 v40, v113, v119 :: v_dual_dot2acc_f32_f16 v67, v115, v116
	s_waitcnt lgkmcnt(1)
	v_dual_dot2acc_f32_f16 v38, v114, v118 :: v_dual_dot2acc_f32_f16 v77, v112, v120
	v_dual_dot2acc_f32_f16 v66, v115, v117 :: v_dual_dot2acc_f32_f16 v45, v112, v122
	;; [unrolled: 41-line block ×14, first 2 shown]
	v_dual_dot2acc_f32_f16 v31, v115, v118 :: v_dual_dot2acc_f32_f16 v76, v112, v121
	v_dual_dot2acc_f32_f16 v30, v115, v119 :: v_dual_dot2acc_f32_f16 v73, v113, v120
	;; [unrolled: 1-line block ×7, first 2 shown]
	s_waitcnt lgkmcnt(0)
	v_dual_dot2acc_f32_f16 v64, v115, v121 :: v_dual_dot2acc_f32_f16 v63, v124, v116
	v_dual_dot2acc_f32_f16 v34, v115, v123 :: v_dual_dot2acc_f32_f16 v17, v124, v118
	ds_load_b128 v[112:115], v80 offset:7680
	v_dual_dot2acc_f32_f16 v62, v124, v117 :: v_dual_dot2acc_f32_f16 v59, v125, v116
	v_dual_dot2acc_f32_f16 v16, v124, v119 :: v_dual_dot2acc_f32_f16 v23, v125, v118
	;; [unrolled: 1-line block ×9, first 2 shown]
	ds_load_b128 v[116:119], v81 offset:24064
	v_dual_dot2acc_f32_f16 v60, v124, v121 :: v_dual_dot2acc_f32_f16 v21, v125, v122
	v_dual_dot2acc_f32_f16 v18, v124, v122 :: v_dual_dot2acc_f32_f16 v47, v126, v121
	;; [unrolled: 1-line block ×5, first 2 shown]
	v_dot2acc_f32_f16 v56, v127, v121
	v_dot2acc_f32_f16 v28, v127, v122
	ds_load_b128 v[120:123], v81 offset:24320
	ds_load_b128 v[124:127], v80 offset:7936
	ds_store_2addr_stride64_b32 v3, v99, v98 offset0:32 offset1:34
	ds_store_2addr_stride64_b32 v3, v97, v96 offset0:36 offset1:38
	ds_store_b32 v5, v103 offset:2048
	ds_store_2addr_stride64_b32 v3, v102, v101 offset0:42 offset1:44
	ds_store_2addr_stride64_b32 v3, v100, v107 offset0:46 offset1:96
	;; [unrolled: 1-line block ×3, first 2 shown]
	ds_store_b32 v6, v111 offset:2048
	ds_store_2addr_stride64_b32 v3, v104, v110 offset0:102 offset1:106
	ds_store_2addr_stride64_b32 v3, v109, v108 offset0:108 offset1:110
	s_waitcnt lgkmcnt(11)
	v_dot2acc_f32_f16 v49, v112, v119
	v_dual_dot2acc_f32_f16 v79, v112, v116 :: v_dual_add_nc_u32 v96, s45, v13
	v_dual_dot2acc_f32_f16 v78, v112, v117 :: v_dual_dot2acc_f32_f16 v75, v113, v116
	v_dual_dot2acc_f32_f16 v74, v113, v117 :: v_dual_dot2acc_f32_f16 v39, v114, v119
	s_delay_alu instid0(VALU_DEP_3)
	v_add_nc_u32_e32 v95, v96, v95
	v_cmp_gt_i32_e64 s3, s37, v96
	v_dual_dot2acc_f32_f16 v41, v113, v118 :: v_dual_dot2acc_f32_f16 v70, v114, v117
	v_dual_dot2acc_f32_f16 v50, v112, v118 :: v_dual_dot2acc_f32_f16 v71, v114, v116
	s_waitcnt lgkmcnt(9)
	v_dot2acc_f32_f16 v56, v127, v121
	v_lshrrev_b32_e32 v104, s51, v95
	v_dual_dot2acc_f32_f16 v40, v113, v119 :: v_dual_dot2acc_f32_f16 v67, v115, v116
	v_dual_dot2acc_f32_f16 v31, v115, v118 :: v_dual_add_nc_u32 v106, s53, v8
	v_dot2acc_f32_f16 v76, v112, v121
	s_delay_alu instid0(VALU_DEP_4) | instskip(SKIP_3) | instid1(VALU_DEP_3)
	v_mad_u64_u32 v[102:103], null, s57, v104, v[96:97]
	v_sub_nc_u32_e32 v92, v104, v92
	v_dual_dot2acc_f32_f16 v38, v114, v118 :: v_dual_dot2acc_f32_f16 v77, v112, v120
	v_dual_dot2acc_f32_f16 v66, v115, v117 :: v_dual_dot2acc_f32_f16 v45, v112, v122
	v_mul_lo_u32 v92, v92, s44
	v_sub_nc_u32_e32 v0, v102, v0
	v_dot2acc_f32_f16 v28, v127, v122
	v_dual_dot2acc_f32_f16 v44, v112, v123 :: v_dual_dot2acc_f32_f16 v69, v114, v120
	v_dual_dot2acc_f32_f16 v30, v115, v119 :: v_dual_dot2acc_f32_f16 v73, v113, v120
	s_delay_alu instid0(VALU_DEP_4) | instskip(SKIP_4) | instid1(VALU_DEP_4)
	v_mul_lo_u32 v0, v0, s26
	v_add_nc_u32_e32 v103, v92, v1
	v_mul_lo_u32 v1, v92, s25
	v_dual_dot2acc_f32_f16 v72, v113, v121 :: v_dual_dot2acc_f32_f16 v37, v114, v122
	v_dual_dot2acc_f32_f16 v42, v113, v122 :: v_dual_dot2acc_f32_f16 v65, v115, v120
	v_cmp_le_i32_e64 s4, s29, v103
	v_cmp_gt_i32_e64 s5, s28, v103
	v_dual_dot2acc_f32_f16 v43, v113, v123 :: v_dual_dot2acc_f32_f16 v68, v114, v121
	v_add3_u32 v105, v0, v1, v93
	v_dual_dot2acc_f32_f16 v36, v114, v123 :: v_dual_dot2acc_f32_f16 v35, v115, v122
	s_delay_alu instid0(VALU_DEP_4) | instskip(SKIP_1) | instid1(VALU_DEP_3)
	s_and_b32 s4, s4, s5
	v_dual_dot2acc_f32_f16 v64, v115, v121 :: v_dual_dot2acc_f32_f16 v63, v124, v116
	v_lshlrev_b32_e32 v0, 1, v105
	s_and_b32 s3, s3, s4
	v_dual_dot2acc_f32_f16 v34, v115, v123 :: v_dual_dot2acc_f32_f16 v17, v124, v118
	s_and_b32 s3, s2, s3
	buffer_load_b128 v[95:98], v0, s[16:19], 0 offen
	v_dual_dot2acc_f32_f16 v62, v124, v117 :: v_dual_dot2acc_f32_f16 v59, v125, v116
	v_dual_dot2acc_f32_f16 v16, v124, v119 :: v_dual_dot2acc_f32_f16 v23, v125, v118
	v_dual_dot2acc_f32_f16 v58, v125, v117 :: v_dual_dot2acc_f32_f16 v25, v126, v118
	v_dual_dot2acc_f32_f16 v22, v125, v119 :: v_dual_dot2acc_f32_f16 v51, v126, v117
	v_dual_dot2acc_f32_f16 v52, v126, v116 :: v_dual_dot2acc_f32_f16 v33, v127, v119
	v_dual_dot2acc_f32_f16 v24, v126, v119 :: v_dual_dot2acc_f32_f16 v61, v124, v120
	v_dual_dot2acc_f32_f16 v46, v127, v116 :: v_dual_dot2acc_f32_f16 v19, v124, v123
	v_dual_dot2acc_f32_f16 v54, v127, v117 :: v_dual_dot2acc_f32_f16 v57, v125, v120
	v_dual_dot2acc_f32_f16 v32, v127, v118 :: v_dual_dot2acc_f32_f16 v53, v125, v121
	v_dual_dot2acc_f32_f16 v60, v124, v121 :: v_dual_dot2acc_f32_f16 v21, v125, v122
	v_dual_dot2acc_f32_f16 v18, v124, v122 :: v_dual_dot2acc_f32_f16 v47, v126, v121
	v_dual_dot2acc_f32_f16 v20, v125, v123 :: v_dual_dot2acc_f32_f16 v27, v126, v122
	v_dual_dot2acc_f32_f16 v48, v126, v120 :: v_dual_dot2acc_f32_f16 v29, v127, v123
	v_dual_dot2acc_f32_f16 v26, v126, v123 :: v_dual_dot2acc_f32_f16 v55, v127, v120
	s_waitcnt vmcnt(0)
	v_cndmask_b32_e64 v101, 0, v95, s3
	v_add_nc_u32_e32 v95, s45, v14
	v_cndmask_b32_e64 v98, 0, v98, s3
	v_cndmask_b32_e64 v99, 0, v97, s3
	;; [unrolled: 1-line block ×3, first 2 shown]
	s_add_i32 s45, s45, s56
	v_add_nc_u32_e32 v0, v95, v94
	v_cmp_gt_i32_e64 s3, s37, v95
	s_delay_alu instid0(VALU_DEP_2) | instskip(NEXT) | instid1(VALU_DEP_1)
	v_lshrrev_b32_e32 v1, s51, v0
	v_mul_lo_u32 v0, v1, s49
	v_mad_u64_u32 v[93:94], null, s57, v1, v[95:96]
	s_delay_alu instid0(VALU_DEP_2) | instskip(SKIP_1) | instid1(VALU_DEP_3)
	v_sub_nc_u32_e32 v92, v2, v0
	v_sub_nc_u32_e32 v0, v1, v104
	;; [unrolled: 1-line block ×3, first 2 shown]
	s_delay_alu instid0(VALU_DEP_2) | instskip(NEXT) | instid1(VALU_DEP_2)
	v_mul_lo_u32 v94, v0, s44
	v_mul_lo_u32 v93, v93, s26
	s_delay_alu instid0(VALU_DEP_2) | instskip(SKIP_1) | instid1(VALU_DEP_2)
	v_add_nc_u32_e32 v0, v94, v103
	v_mul_lo_u32 v94, v94, s25
	v_cmp_le_i32_e64 s4, s29, v0
	v_cmp_gt_i32_e64 s5, s28, v0
	s_delay_alu instid0(VALU_DEP_3) | instskip(NEXT) | instid1(VALU_DEP_2)
	v_add3_u32 v93, v93, v94, v105
	s_and_b32 s4, s4, s5
	s_delay_alu instid0(SALU_CYCLE_1) | instskip(NEXT) | instid1(VALU_DEP_1)
	s_and_b32 s3, s3, s4
	v_lshlrev_b32_e32 v94, 1, v93
	s_and_b32 s3, s2, s3
	buffer_load_b128 v[94:97], v94, s[16:19], 0 offen
	s_waitcnt vmcnt(0)
	v_cndmask_b32_e64 v105, 0, v94, s3
	v_add_nc_u32_e32 v94, v84, v91
	v_cndmask_b32_e64 v102, 0, v97, s3
	v_cndmask_b32_e64 v103, 0, v96, s3
	;; [unrolled: 1-line block ×3, first 2 shown]
	v_cmp_gt_i32_e64 s3, s52, v106
	buffer_load_b128 v[106:109], v94, s[12:15], 0 offen
	s_and_b32 s3, vcc_lo, s3
	s_waitcnt vmcnt(0)
	v_cndmask_b32_e64 v97, 0, v106, s3
	v_add_nc_u32_e32 v106, v15, v91
	v_cndmask_b32_e64 v94, 0, v109, s3
	v_cndmask_b32_e64 v96, 0, v107, s3
	v_add_nc_u32_e32 v107, s53, v7
	v_cndmask_b32_e64 v95, 0, v108, s3
	buffer_load_b128 v[109:112], v106, s[12:15], 0 offen
	s_waitcnt vmcnt(0) lgkmcnt(0)
	s_barrier
	v_cmp_gt_i32_e64 s3, s52, v107
	v_add_nc_u32_e32 v91, s55, v91
	s_add_i32 s53, s53, s41
	s_delay_alu instid0(VALU_DEP_2)
	s_and_b32 s3, vcc_lo, s3
	s_cmp_lt_i32 s54, s30
	v_cndmask_b32_e64 v106, 0, v112, s3
	v_cndmask_b32_e64 v107, 0, v111, s3
	;; [unrolled: 1-line block ×3, first 2 shown]
	ds_load_b128 v[110:113], v80 offset:8192
	ds_load_b128 v[114:117], v81 offset:24576
	;; [unrolled: 1-line block ×4, first 2 shown]
	v_cndmask_b32_e64 v109, 0, v109, s3
	s_waitcnt lgkmcnt(2)
	v_dot2acc_f32_f16 v50, v110, v116
	v_dot2acc_f32_f16 v79, v110, v114
	;; [unrolled: 1-line block ×5, first 2 shown]
	s_waitcnt lgkmcnt(1)
	v_dual_dot2acc_f32_f16 v74, v111, v115 :: v_dual_dot2acc_f32_f16 v77, v110, v118
	v_dot2acc_f32_f16 v41, v111, v116
	v_dual_dot2acc_f32_f16 v40, v111, v117 :: v_dual_dot2acc_f32_f16 v45, v110, v120
	v_dot2acc_f32_f16 v71, v112, v114
	v_dual_dot2acc_f32_f16 v70, v112, v115 :: v_dual_dot2acc_f32_f16 v73, v111, v118
	v_dual_dot2acc_f32_f16 v38, v112, v116 :: v_dual_dot2acc_f32_f16 v43, v111, v121
	v_dot2acc_f32_f16 v39, v112, v117
	v_dot2acc_f32_f16 v67, v113, v114
	v_dual_dot2acc_f32_f16 v66, v113, v115 :: v_dual_dot2acc_f32_f16 v69, v112, v118
	v_dot2acc_f32_f16 v31, v113, v116
	v_dual_dot2acc_f32_f16 v30, v113, v117 :: v_dual_dot2acc_f32_f16 v37, v112, v120
	v_dual_dot2acc_f32_f16 v76, v110, v119 :: v_dual_dot2acc_f32_f16 v65, v113, v118
	;; [unrolled: 1-line block ×3, first 2 shown]
	s_waitcnt lgkmcnt(0)
	v_dual_dot2acc_f32_f16 v72, v111, v119 :: v_dual_dot2acc_f32_f16 v63, v122, v114
	v_dual_dot2acc_f32_f16 v42, v111, v120 :: v_dual_dot2acc_f32_f16 v51, v124, v115
	v_dual_dot2acc_f32_f16 v68, v112, v119 :: v_dual_dot2acc_f32_f16 v17, v122, v116
	v_dual_dot2acc_f32_f16 v36, v112, v121 :: v_dual_dot2acc_f32_f16 v59, v123, v114
	v_dual_dot2acc_f32_f16 v64, v113, v119 :: v_dual_dot2acc_f32_f16 v23, v123, v116
	v_dual_dot2acc_f32_f16 v34, v113, v121 :: v_dual_dot2acc_f32_f16 v25, v124, v116
	ds_load_b128 v[110:113], v80 offset:8704
	v_dual_dot2acc_f32_f16 v62, v122, v115 :: v_dual_dot2acc_f32_f16 v33, v125, v117
	v_dual_dot2acc_f32_f16 v16, v122, v117 :: v_dual_dot2acc_f32_f16 v57, v123, v118
	v_dual_dot2acc_f32_f16 v58, v123, v115 :: v_dual_dot2acc_f32_f16 v61, v122, v118
	v_dual_dot2acc_f32_f16 v22, v123, v117 :: v_dual_dot2acc_f32_f16 v47, v124, v119
	v_dual_dot2acc_f32_f16 v52, v124, v114 :: v_dual_dot2acc_f32_f16 v19, v122, v121
	v_dual_dot2acc_f32_f16 v24, v124, v117 :: v_dual_dot2acc_f32_f16 v53, v123, v119
	v_dual_dot2acc_f32_f16 v46, v125, v114 :: v_dual_dot2acc_f32_f16 v21, v123, v120
	v_dual_dot2acc_f32_f16 v54, v125, v115 :: v_dual_dot2acc_f32_f16 v27, v124, v120
	v_dot2acc_f32_f16 v32, v125, v116
	ds_load_b128 v[114:117], v81 offset:25088
	v_dual_dot2acc_f32_f16 v60, v122, v119 :: v_dual_dot2acc_f32_f16 v55, v125, v118
	v_dual_dot2acc_f32_f16 v18, v122, v120 :: v_dual_dot2acc_f32_f16 v29, v125, v121
	v_dot2acc_f32_f16 v20, v123, v121
	v_dot2acc_f32_f16 v48, v124, v118
	v_dot2acc_f32_f16 v26, v124, v121
	v_dot2acc_f32_f16 v56, v125, v119
	v_dot2acc_f32_f16 v28, v125, v120
	ds_load_b128 v[118:121], v81 offset:25344
	ds_load_b128 v[122:125], v80 offset:8960
	s_waitcnt lgkmcnt(2)
	v_dot2acc_f32_f16 v39, v112, v117
	v_dot2acc_f32_f16 v79, v110, v114
	v_dual_dot2acc_f32_f16 v78, v110, v115 :: v_dual_dot2acc_f32_f16 v67, v113, v114
	v_dot2acc_f32_f16 v50, v110, v116
	v_dot2acc_f32_f16 v49, v110, v117
	v_dot2acc_f32_f16 v75, v111, v114
	v_dual_dot2acc_f32_f16 v74, v111, v115 :: v_dual_dot2acc_f32_f16 v31, v113, v116
	v_dot2acc_f32_f16 v41, v111, v116
	s_waitcnt lgkmcnt(1)
	v_dual_dot2acc_f32_f16 v40, v111, v117 :: v_dual_dot2acc_f32_f16 v77, v110, v118
	v_dot2acc_f32_f16 v71, v112, v114
	v_dual_dot2acc_f32_f16 v70, v112, v115 :: v_dual_dot2acc_f32_f16 v45, v110, v120
	v_dual_dot2acc_f32_f16 v38, v112, v116 :: v_dual_dot2acc_f32_f16 v43, v111, v121
	v_dual_dot2acc_f32_f16 v66, v113, v115 :: v_dual_dot2acc_f32_f16 v69, v112, v118
	v_dual_dot2acc_f32_f16 v30, v113, v117 :: v_dual_dot2acc_f32_f16 v37, v112, v120
	v_dual_dot2acc_f32_f16 v76, v110, v119 :: v_dual_dot2acc_f32_f16 v65, v113, v118
	v_dual_dot2acc_f32_f16 v44, v110, v121 :: v_dual_dot2acc_f32_f16 v35, v113, v120
	v_dot2acc_f32_f16 v73, v111, v118
	s_waitcnt lgkmcnt(0)
	v_dual_dot2acc_f32_f16 v72, v111, v119 :: v_dual_dot2acc_f32_f16 v63, v122, v114
	v_dual_dot2acc_f32_f16 v42, v111, v120 :: v_dual_dot2acc_f32_f16 v51, v124, v115
	v_dual_dot2acc_f32_f16 v68, v112, v119 :: v_dual_dot2acc_f32_f16 v17, v122, v116
	v_dual_dot2acc_f32_f16 v36, v112, v121 :: v_dual_dot2acc_f32_f16 v59, v123, v114
	v_dual_dot2acc_f32_f16 v64, v113, v119 :: v_dual_dot2acc_f32_f16 v23, v123, v116
	v_dual_dot2acc_f32_f16 v34, v113, v121 :: v_dual_dot2acc_f32_f16 v25, v124, v116
	ds_load_b128 v[110:113], v80 offset:9216
	v_dual_dot2acc_f32_f16 v62, v122, v115 :: v_dual_dot2acc_f32_f16 v33, v125, v117
	v_dual_dot2acc_f32_f16 v16, v122, v117 :: v_dual_dot2acc_f32_f16 v57, v123, v118
	v_dual_dot2acc_f32_f16 v58, v123, v115 :: v_dual_dot2acc_f32_f16 v61, v122, v118
	v_dual_dot2acc_f32_f16 v22, v123, v117 :: v_dual_dot2acc_f32_f16 v47, v124, v119
	v_dual_dot2acc_f32_f16 v52, v124, v114 :: v_dual_dot2acc_f32_f16 v19, v122, v121
	v_dual_dot2acc_f32_f16 v24, v124, v117 :: v_dual_dot2acc_f32_f16 v53, v123, v119
	v_dual_dot2acc_f32_f16 v46, v125, v114 :: v_dual_dot2acc_f32_f16 v21, v123, v120
	v_dual_dot2acc_f32_f16 v54, v125, v115 :: v_dual_dot2acc_f32_f16 v27, v124, v120
	v_dot2acc_f32_f16 v32, v125, v116
	ds_load_b128 v[114:117], v81 offset:25600
	v_dual_dot2acc_f32_f16 v60, v122, v119 :: v_dual_dot2acc_f32_f16 v55, v125, v118
	v_dual_dot2acc_f32_f16 v18, v122, v120 :: v_dual_dot2acc_f32_f16 v29, v125, v121
	v_dot2acc_f32_f16 v20, v123, v121
	v_dot2acc_f32_f16 v48, v124, v118
	v_dot2acc_f32_f16 v26, v124, v121
	v_dot2acc_f32_f16 v56, v125, v119
	v_dot2acc_f32_f16 v28, v125, v120
	ds_load_b128 v[118:121], v81 offset:25856
	ds_load_b128 v[122:125], v80 offset:9472
	s_waitcnt lgkmcnt(2)
	v_dot2acc_f32_f16 v39, v112, v117
	v_dot2acc_f32_f16 v79, v110, v114
	v_dual_dot2acc_f32_f16 v78, v110, v115 :: v_dual_dot2acc_f32_f16 v67, v113, v114
	v_dot2acc_f32_f16 v50, v110, v116
	v_dot2acc_f32_f16 v49, v110, v117
	v_dot2acc_f32_f16 v75, v111, v114
	v_dual_dot2acc_f32_f16 v74, v111, v115 :: v_dual_dot2acc_f32_f16 v31, v113, v116
	v_dot2acc_f32_f16 v41, v111, v116
	s_waitcnt lgkmcnt(1)
	v_dual_dot2acc_f32_f16 v40, v111, v117 :: v_dual_dot2acc_f32_f16 v77, v110, v118
	v_dot2acc_f32_f16 v71, v112, v114
	v_dual_dot2acc_f32_f16 v70, v112, v115 :: v_dual_dot2acc_f32_f16 v45, v110, v120
	v_dual_dot2acc_f32_f16 v38, v112, v116 :: v_dual_dot2acc_f32_f16 v43, v111, v121
	v_dual_dot2acc_f32_f16 v66, v113, v115 :: v_dual_dot2acc_f32_f16 v69, v112, v118
	v_dual_dot2acc_f32_f16 v30, v113, v117 :: v_dual_dot2acc_f32_f16 v37, v112, v120
	v_dual_dot2acc_f32_f16 v76, v110, v119 :: v_dual_dot2acc_f32_f16 v65, v113, v118
	v_dual_dot2acc_f32_f16 v44, v110, v121 :: v_dual_dot2acc_f32_f16 v35, v113, v120
	v_dot2acc_f32_f16 v73, v111, v118
	;; [unrolled: 46-line block ×14, first 2 shown]
	s_waitcnt lgkmcnt(0)
	v_dual_dot2acc_f32_f16 v72, v111, v119 :: v_dual_dot2acc_f32_f16 v63, v122, v114
	v_dual_dot2acc_f32_f16 v42, v111, v120 :: v_dual_dot2acc_f32_f16 v51, v124, v115
	;; [unrolled: 1-line block ×6, first 2 shown]
	ds_load_b128 v[110:113], v80 offset:15872
	v_dual_dot2acc_f32_f16 v62, v122, v115 :: v_dual_dot2acc_f32_f16 v33, v125, v117
	v_dual_dot2acc_f32_f16 v16, v122, v117 :: v_dual_dot2acc_f32_f16 v57, v123, v118
	;; [unrolled: 1-line block ×8, first 2 shown]
	v_dot2acc_f32_f16 v32, v125, v116
	ds_load_b128 v[114:117], v81 offset:32256
	v_dual_dot2acc_f32_f16 v60, v122, v119 :: v_dual_dot2acc_f32_f16 v55, v125, v118
	v_dual_dot2acc_f32_f16 v18, v122, v120 :: v_dual_dot2acc_f32_f16 v29, v125, v121
	v_dot2acc_f32_f16 v20, v123, v121
	v_dot2acc_f32_f16 v48, v124, v118
	;; [unrolled: 1-line block ×5, first 2 shown]
	ds_load_b128 v[118:121], v81 offset:32512
	ds_load_b128 v[122:125], v80 offset:16128
	ds_store_2addr_stride64_b32 v3, v101, v100 offset1:2
	ds_store_2addr_stride64_b32 v3, v99, v98 offset0:4 offset1:6
	ds_store_2addr_stride64_b32 v3, v105, v104 offset0:8 offset1:10
	ds_store_2addr_stride64_b32 v3, v103, v102 offset0:12 offset1:14
	ds_store_2addr_stride64_b32 v3, v97, v96 offset0:64 offset1:66
	ds_store_2addr_stride64_b32 v3, v95, v94 offset0:68 offset1:70
	ds_store_b32 v4, v109 offset:2048
	ds_store_2addr_stride64_b32 v3, v108, v107 offset0:74 offset1:76
	ds_store_b32 v3, v106 offset:19968
	s_waitcnt lgkmcnt(11)
	v_dot2acc_f32_f16 v39, v112, v117
	v_dot2acc_f32_f16 v79, v110, v114
	v_dual_dot2acc_f32_f16 v78, v110, v115 :: v_dual_dot2acc_f32_f16 v67, v113, v114
	v_dot2acc_f32_f16 v50, v110, v116
	v_dot2acc_f32_f16 v49, v110, v117
	;; [unrolled: 1-line block ×3, first 2 shown]
	v_dual_dot2acc_f32_f16 v74, v111, v115 :: v_dual_dot2acc_f32_f16 v31, v113, v116
	v_dot2acc_f32_f16 v41, v111, v116
	s_waitcnt lgkmcnt(10)
	v_dual_dot2acc_f32_f16 v40, v111, v117 :: v_dual_dot2acc_f32_f16 v77, v110, v118
	v_dot2acc_f32_f16 v71, v112, v114
	v_dual_dot2acc_f32_f16 v70, v112, v115 :: v_dual_dot2acc_f32_f16 v45, v110, v120
	v_dual_dot2acc_f32_f16 v38, v112, v116 :: v_dual_dot2acc_f32_f16 v43, v111, v121
	;; [unrolled: 1-line block ×6, first 2 shown]
	v_dot2acc_f32_f16 v73, v111, v118
	s_waitcnt lgkmcnt(9)
	v_dual_dot2acc_f32_f16 v72, v111, v119 :: v_dual_dot2acc_f32_f16 v63, v122, v114
	v_dual_dot2acc_f32_f16 v42, v111, v120 :: v_dual_dot2acc_f32_f16 v51, v124, v115
	;; [unrolled: 1-line block ×14, first 2 shown]
	v_dot2acc_f32_f16 v32, v125, v116
	v_dual_dot2acc_f32_f16 v60, v122, v119 :: v_dual_dot2acc_f32_f16 v55, v125, v118
	v_dual_dot2acc_f32_f16 v18, v122, v120 :: v_dual_dot2acc_f32_f16 v29, v125, v121
	v_dot2acc_f32_f16 v20, v123, v121
	v_dot2acc_f32_f16 v48, v124, v118
	;; [unrolled: 1-line block ×5, first 2 shown]
	s_cbranch_scc1 .LBB2_1
; %bb.2:
	s_waitcnt lgkmcnt(0)
	s_barrier
	buffer_gl0_inv
	ds_load_b128 v[0:3], v80
	ds_load_b128 v[4:7], v81 offset:16384
	ds_load_b128 v[8:11], v81 offset:16640
	;; [unrolled: 1-line block ×5, first 2 shown]
	v_lshl_add_u32 v83, s33, 7, v83
	s_load_b64 s[0:1], s[0:1], 0x10
	v_lshl_add_u32 v82, s46, 7, v82
	s_lshl_b64 s[2:3], s[22:23], 1
	s_mul_i32 s6, s20, s48
	s_mul_hi_u32 s7, s20, s47
	s_add_u32 s4, s42, s2
	s_mul_i32 s8, s21, s47
	s_addc_u32 s5, s43, s3
	s_add_i32 s3, s7, s6
	s_mul_i32 s2, s20, s47
	s_add_i32 s3, s3, s8
	v_cmp_gt_i32_e32 vcc_lo, s31, v82
	s_lshl_b64 s[2:3], s[2:3], 1
	s_waitcnt lgkmcnt(0)
	v_dual_dot2acc_f32_f16 v79, v0, v4 :: v_dual_dot2acc_f32_f16 v74, v1, v5
	v_dual_dot2acc_f32_f16 v78, v0, v5 :: v_dual_dot2acc_f32_f16 v75, v1, v4
	v_dual_dot2acc_f32_f16 v50, v0, v6 :: v_dual_dot2acc_f32_f16 v71, v2, v4
	v_dual_dot2acc_f32_f16 v49, v0, v7 :: v_dual_dot2acc_f32_f16 v70, v2, v5
	v_dual_dot2acc_f32_f16 v41, v1, v6 :: v_dual_dot2acc_f32_f16 v66, v3, v5
	v_dual_dot2acc_f32_f16 v40, v1, v7 :: v_dual_dot2acc_f32_f16 v67, v3, v4
	v_dual_dot2acc_f32_f16 v38, v2, v6 :: v_dual_dot2acc_f32_f16 v77, v0, v8
	v_dual_dot2acc_f32_f16 v39, v2, v7 :: v_dual_dot2acc_f32_f16 v76, v0, v9
	v_dual_dot2acc_f32_f16 v31, v3, v6 :: v_dual_dot2acc_f32_f16 v44, v0, v11
	v_dual_dot2acc_f32_f16 v30, v3, v7 :: v_dual_dot2acc_f32_f16 v45, v0, v10
	v_dual_dot2acc_f32_f16 v73, v1, v8 :: v_dual_dot2acc_f32_f16 v68, v2, v9
	v_dual_dot2acc_f32_f16 v72, v1, v9 :: v_dual_dot2acc_f32_f16 v69, v2, v8
	v_dual_dot2acc_f32_f16 v42, v1, v10 :: v_dual_dot2acc_f32_f16 v65, v3, v8
	v_dual_dot2acc_f32_f16 v43, v1, v11 :: v_dual_dot2acc_f32_f16 v64, v3, v9
	v_dual_dot2acc_f32_f16 v37, v2, v10 :: v_dual_dot2acc_f32_f16 v34, v3, v11
	v_dual_dot2acc_f32_f16 v36, v2, v11 :: v_dual_dot2acc_f32_f16 v35, v3, v10
	ds_load_b128 v[0:3], v80 offset:512
	v_dual_dot2acc_f32_f16 v63, v12, v4 :: v_dual_dot2acc_f32_f16 v58, v13, v5
	v_dual_dot2acc_f32_f16 v62, v12, v5 :: v_dual_dot2acc_f32_f16 v59, v13, v4
	;; [unrolled: 1-line block ×15, first 2 shown]
	ds_load_b128 v[4:7], v81 offset:17152
	s_waitcnt lgkmcnt(1)
	v_dual_dot2acc_f32_f16 v28, v15, v10 :: v_dual_dot2acc_f32_f16 v79, v0, v84
	v_dual_dot2acc_f32_f16 v29, v15, v11 :: v_dual_dot2acc_f32_f16 v78, v0, v85
	ds_load_b128 v[8:11], v80 offset:768
	v_dual_dot2acc_f32_f16 v50, v0, v86 :: v_dual_dot2acc_f32_f16 v75, v1, v84
	v_dual_dot2acc_f32_f16 v49, v0, v87 :: v_dual_dot2acc_f32_f16 v74, v1, v85
	v_dual_dot2acc_f32_f16 v41, v1, v86 :: v_dual_dot2acc_f32_f16 v70, v2, v85
	v_dual_dot2acc_f32_f16 v40, v1, v87 :: v_dual_dot2acc_f32_f16 v71, v2, v84
	v_dual_dot2acc_f32_f16 v38, v2, v86 :: v_dual_dot2acc_f32_f16 v67, v3, v84
	v_dual_dot2acc_f32_f16 v39, v2, v87 :: v_dual_dot2acc_f32_f16 v66, v3, v85
	ds_load_b128 v[12:15], v81 offset:17408
	s_waitcnt lgkmcnt(2)
	v_dual_dot2acc_f32_f16 v31, v3, v86 :: v_dual_dot2acc_f32_f16 v76, v0, v5
	v_dual_dot2acc_f32_f16 v30, v3, v87 :: v_dual_dot2acc_f32_f16 v77, v0, v4
	v_dual_dot2acc_f32_f16 v45, v0, v6 :: v_dual_dot2acc_f32_f16 v72, v1, v5
	v_dual_dot2acc_f32_f16 v44, v0, v7 :: v_dual_dot2acc_f32_f16 v73, v1, v4
	v_dual_dot2acc_f32_f16 v42, v1, v6 :: v_dual_dot2acc_f32_f16 v69, v2, v4
	v_dual_dot2acc_f32_f16 v43, v1, v7 :: v_dual_dot2acc_f32_f16 v68, v2, v5
	v_dual_dot2acc_f32_f16 v37, v2, v6 :: v_dual_dot2acc_f32_f16 v64, v3, v5
	v_dual_dot2acc_f32_f16 v36, v2, v7 :: v_dual_dot2acc_f32_f16 v65, v3, v4
	v_dot2acc_f32_f16 v35, v3, v6
	v_dot2acc_f32_f16 v34, v3, v7
	ds_load_b128 v[0:3], v80 offset:1024
	s_waitcnt lgkmcnt(2)
	v_dot2acc_f32_f16 v63, v8, v84
	v_dot2acc_f32_f16 v62, v8, v85
	v_dual_dot2acc_f32_f16 v17, v8, v86 :: v_dual_dot2acc_f32_f16 v58, v9, v85
	v_dual_dot2acc_f32_f16 v16, v8, v87 :: v_dual_dot2acc_f32_f16 v59, v9, v84
	v_dual_dot2acc_f32_f16 v23, v9, v86 :: v_dual_dot2acc_f32_f16 v52, v10, v84
	v_dual_dot2acc_f32_f16 v22, v9, v87 :: v_dual_dot2acc_f32_f16 v51, v10, v85
	v_dual_dot2acc_f32_f16 v25, v10, v86 :: v_dual_dot2acc_f32_f16 v46, v11, v84
	v_dual_dot2acc_f32_f16 v24, v10, v87 :: v_dual_dot2acc_f32_f16 v61, v8, v4
	v_dual_dot2acc_f32_f16 v54, v11, v85 :: v_dual_dot2acc_f32_f16 v19, v8, v7
	v_dual_dot2acc_f32_f16 v32, v11, v86 :: v_dual_dot2acc_f32_f16 v57, v9, v4
	v_dual_dot2acc_f32_f16 v33, v11, v87 :: v_dual_dot2acc_f32_f16 v60, v8, v5
	v_dual_dot2acc_f32_f16 v18, v8, v6 :: v_dual_dot2acc_f32_f16 v53, v9, v5
	v_dual_dot2acc_f32_f16 v21, v9, v6 :: v_dual_dot2acc_f32_f16 v48, v10, v4
	v_dual_dot2acc_f32_f16 v20, v9, v7 :: v_dual_dot2acc_f32_f16 v47, v10, v5
	v_dual_dot2acc_f32_f16 v27, v10, v6 :: v_dual_dot2acc_f32_f16 v56, v11, v5
	v_dual_dot2acc_f32_f16 v26, v10, v7 :: v_dual_dot2acc_f32_f16 v55, v11, v4
	ds_load_b128 v[84:87], v81 offset:17664
	s_waitcnt lgkmcnt(1)
	v_dual_dot2acc_f32_f16 v28, v11, v6 :: v_dual_dot2acc_f32_f16 v79, v0, v12
	v_dual_dot2acc_f32_f16 v29, v11, v7 :: v_dual_dot2acc_f32_f16 v78, v0, v13
	ds_load_b128 v[4:7], v80 offset:1280
	v_dual_dot2acc_f32_f16 v50, v0, v14 :: v_dual_dot2acc_f32_f16 v75, v1, v12
	v_dual_dot2acc_f32_f16 v49, v0, v15 :: v_dual_dot2acc_f32_f16 v74, v1, v13
	v_dual_dot2acc_f32_f16 v41, v1, v14 :: v_dual_dot2acc_f32_f16 v70, v2, v13
	v_dual_dot2acc_f32_f16 v40, v1, v15 :: v_dual_dot2acc_f32_f16 v71, v2, v12
	v_dual_dot2acc_f32_f16 v38, v2, v14 :: v_dual_dot2acc_f32_f16 v67, v3, v12
	v_dual_dot2acc_f32_f16 v39, v2, v15 :: v_dual_dot2acc_f32_f16 v66, v3, v13
	ds_load_b128 v[8:11], v81 offset:17920
	s_waitcnt lgkmcnt(2)
	v_dual_dot2acc_f32_f16 v31, v3, v14 :: v_dual_dot2acc_f32_f16 v76, v0, v85
	v_dual_dot2acc_f32_f16 v30, v3, v15 :: v_dual_dot2acc_f32_f16 v77, v0, v84
	v_dual_dot2acc_f32_f16 v45, v0, v86 :: v_dual_dot2acc_f32_f16 v72, v1, v85
	v_dual_dot2acc_f32_f16 v44, v0, v87 :: v_dual_dot2acc_f32_f16 v73, v1, v84
	v_dual_dot2acc_f32_f16 v42, v1, v86 :: v_dual_dot2acc_f32_f16 v69, v2, v84
	v_dual_dot2acc_f32_f16 v43, v1, v87 :: v_dual_dot2acc_f32_f16 v68, v2, v85
	v_dual_dot2acc_f32_f16 v37, v2, v86 :: v_dual_dot2acc_f32_f16 v64, v3, v85
	v_dual_dot2acc_f32_f16 v36, v2, v87 :: v_dual_dot2acc_f32_f16 v65, v3, v84
	v_dot2acc_f32_f16 v35, v3, v86
	v_dot2acc_f32_f16 v34, v3, v87
	ds_load_b128 v[0:3], v80 offset:1536
	s_waitcnt lgkmcnt(2)
	v_dot2acc_f32_f16 v63, v4, v12
	v_dot2acc_f32_f16 v62, v4, v13
	v_dual_dot2acc_f32_f16 v17, v4, v14 :: v_dual_dot2acc_f32_f16 v58, v5, v13
	v_dual_dot2acc_f32_f16 v16, v4, v15 :: v_dual_dot2acc_f32_f16 v59, v5, v12
	v_dual_dot2acc_f32_f16 v23, v5, v14 :: v_dual_dot2acc_f32_f16 v52, v6, v12
	v_dual_dot2acc_f32_f16 v22, v5, v15 :: v_dual_dot2acc_f32_f16 v51, v6, v13
	v_dual_dot2acc_f32_f16 v25, v6, v14 :: v_dual_dot2acc_f32_f16 v46, v7, v12
	v_dual_dot2acc_f32_f16 v24, v6, v15 :: v_dual_dot2acc_f32_f16 v61, v4, v84
	v_dual_dot2acc_f32_f16 v54, v7, v13 :: v_dual_dot2acc_f32_f16 v19, v4, v87
	v_dual_dot2acc_f32_f16 v32, v7, v14 :: v_dual_dot2acc_f32_f16 v57, v5, v84
	v_dual_dot2acc_f32_f16 v33, v7, v15 :: v_dual_dot2acc_f32_f16 v60, v4, v85
	v_dual_dot2acc_f32_f16 v18, v4, v86 :: v_dual_dot2acc_f32_f16 v53, v5, v85
	v_dual_dot2acc_f32_f16 v21, v5, v86 :: v_dual_dot2acc_f32_f16 v48, v6, v84
	v_dual_dot2acc_f32_f16 v20, v5, v87 :: v_dual_dot2acc_f32_f16 v47, v6, v85
	v_dual_dot2acc_f32_f16 v27, v6, v86 :: v_dual_dot2acc_f32_f16 v56, v7, v85
	v_dual_dot2acc_f32_f16 v26, v6, v87 :: v_dual_dot2acc_f32_f16 v55, v7, v84
	;; [unrolled: 41-line block ×8, first 2 shown]
	ds_load_b128 v[12:15], v81 offset:21248
	s_waitcnt lgkmcnt(1)
	v_dual_dot2acc_f32_f16 v28, v7, v86 :: v_dual_dot2acc_f32_f16 v79, v0, v8
	v_dual_dot2acc_f32_f16 v29, v7, v87 :: v_dual_dot2acc_f32_f16 v78, v0, v9
	ds_load_b128 v[4:7], v80 offset:4864
	v_dual_dot2acc_f32_f16 v50, v0, v10 :: v_dual_dot2acc_f32_f16 v75, v1, v8
	v_dual_dot2acc_f32_f16 v49, v0, v11 :: v_dual_dot2acc_f32_f16 v74, v1, v9
	;; [unrolled: 1-line block ×6, first 2 shown]
	ds_load_b128 v[84:87], v81 offset:21504
	s_waitcnt lgkmcnt(2)
	v_dual_dot2acc_f32_f16 v31, v3, v10 :: v_dual_dot2acc_f32_f16 v76, v0, v13
	v_dual_dot2acc_f32_f16 v30, v3, v11 :: v_dual_dot2acc_f32_f16 v77, v0, v12
	v_dual_dot2acc_f32_f16 v45, v0, v14 :: v_dual_dot2acc_f32_f16 v72, v1, v13
	v_dual_dot2acc_f32_f16 v44, v0, v15 :: v_dual_dot2acc_f32_f16 v73, v1, v12
	v_dual_dot2acc_f32_f16 v42, v1, v14 :: v_dual_dot2acc_f32_f16 v69, v2, v12
	v_dual_dot2acc_f32_f16 v43, v1, v15 :: v_dual_dot2acc_f32_f16 v68, v2, v13
	v_dual_dot2acc_f32_f16 v37, v2, v14 :: v_dual_dot2acc_f32_f16 v64, v3, v13
	v_dual_dot2acc_f32_f16 v36, v2, v15 :: v_dual_dot2acc_f32_f16 v65, v3, v12
	v_dot2acc_f32_f16 v35, v3, v14
	v_dot2acc_f32_f16 v34, v3, v15
	ds_load_b128 v[0:3], v80 offset:5120
	s_waitcnt lgkmcnt(2)
	v_dot2acc_f32_f16 v63, v4, v8
	v_dot2acc_f32_f16 v62, v4, v9
	v_dual_dot2acc_f32_f16 v17, v4, v10 :: v_dual_dot2acc_f32_f16 v58, v5, v9
	v_dual_dot2acc_f32_f16 v16, v4, v11 :: v_dual_dot2acc_f32_f16 v59, v5, v8
	;; [unrolled: 1-line block ×9, first 2 shown]
	ds_load_b128 v[8:11], v81 offset:21760
	v_dual_dot2acc_f32_f16 v18, v4, v14 :: v_dual_dot2acc_f32_f16 v53, v5, v13
	v_dual_dot2acc_f32_f16 v21, v5, v14 :: v_dual_dot2acc_f32_f16 v48, v6, v12
	v_dual_dot2acc_f32_f16 v20, v5, v15 :: v_dual_dot2acc_f32_f16 v47, v6, v13
	v_dual_dot2acc_f32_f16 v27, v6, v14 :: v_dual_dot2acc_f32_f16 v56, v7, v13
	v_dual_dot2acc_f32_f16 v26, v6, v15 :: v_dual_dot2acc_f32_f16 v55, v7, v12
	s_waitcnt lgkmcnt(1)
	v_dual_dot2acc_f32_f16 v28, v7, v14 :: v_dual_dot2acc_f32_f16 v79, v0, v84
	v_dual_dot2acc_f32_f16 v29, v7, v15 :: v_dual_dot2acc_f32_f16 v78, v0, v85
	;; [unrolled: 1-line block ×8, first 2 shown]
	ds_load_b128 v[12:15], v81 offset:22016
	s_waitcnt lgkmcnt(1)
	v_dual_dot2acc_f32_f16 v31, v3, v86 :: v_dual_dot2acc_f32_f16 v76, v0, v9
	v_dual_dot2acc_f32_f16 v30, v3, v87 :: v_dual_dot2acc_f32_f16 v77, v0, v8
	;; [unrolled: 1-line block ×8, first 2 shown]
	v_dot2acc_f32_f16 v35, v3, v10
	v_dot2acc_f32_f16 v34, v3, v11
	ds_load_b128 v[0:3], v80 offset:5632
	v_dual_dot2acc_f32_f16 v63, v88, v84 :: v_dual_dot2acc_f32_f16 v24, v90, v87
	v_dual_dot2acc_f32_f16 v61, v88, v8 :: v_dual_dot2acc_f32_f16 v54, v91, v85
	;; [unrolled: 1-line block ×3, first 2 shown]
	v_dot2acc_f32_f16 v57, v89, v8
	v_dual_dot2acc_f32_f16 v33, v91, v87 :: v_dual_dot2acc_f32_f16 v60, v88, v9
	v_dual_dot2acc_f32_f16 v18, v88, v10 :: v_dual_dot2acc_f32_f16 v53, v89, v9
	;; [unrolled: 1-line block ×6, first 2 shown]
	ds_load_b128 v[4:7], v81 offset:22272
	s_waitcnt lgkmcnt(1)
	v_dual_dot2acc_f32_f16 v28, v91, v10 :: v_dual_dot2acc_f32_f16 v79, v0, v12
	v_dual_dot2acc_f32_f16 v29, v91, v11 :: v_dual_dot2acc_f32_f16 v78, v0, v13
	ds_load_b128 v[8:11], v80 offset:5888
	v_dual_dot2acc_f32_f16 v16, v88, v87 :: v_dual_dot2acc_f32_f16 v59, v89, v84
	v_dual_dot2acc_f32_f16 v23, v89, v86 :: v_dual_dot2acc_f32_f16 v52, v90, v84
	;; [unrolled: 1-line block ×3, first 2 shown]
	v_mul_lo_u32 v84, v83, s38
	v_dot2acc_f32_f16 v62, v88, v85
	v_dual_dot2acc_f32_f16 v17, v88, v86 :: v_dual_dot2acc_f32_f16 v58, v89, v85
	v_dual_dot2acc_f32_f16 v22, v89, v87 :: v_dual_dot2acc_f32_f16 v51, v90, v85
	;; [unrolled: 1-line block ×3, first 2 shown]
	v_mad_u64_u32 v[85:86], null, v82, s39, v[84:85]
	v_dual_dot2acc_f32_f16 v49, v0, v15 :: v_dual_dot2acc_f32_f16 v74, v1, v13
	v_dual_dot2acc_f32_f16 v41, v1, v14 :: v_dual_dot2acc_f32_f16 v70, v2, v13
	;; [unrolled: 1-line block ×5, first 2 shown]
	s_waitcnt lgkmcnt(1)
	v_dual_dot2acc_f32_f16 v31, v3, v14 :: v_dual_dot2acc_f32_f16 v76, v0, v5
	v_dual_dot2acc_f32_f16 v30, v3, v15 :: v_dual_dot2acc_f32_f16 v77, v0, v4
	v_dual_dot2acc_f32_f16 v45, v0, v6 :: v_dual_dot2acc_f32_f16 v72, v1, v5
	v_dual_dot2acc_f32_f16 v44, v0, v7 :: v_dual_dot2acc_f32_f16 v73, v1, v4
	v_dual_dot2acc_f32_f16 v42, v1, v6 :: v_dual_dot2acc_f32_f16 v69, v2, v4
	v_dual_dot2acc_f32_f16 v43, v1, v7 :: v_dual_dot2acc_f32_f16 v68, v2, v5
	v_dual_dot2acc_f32_f16 v37, v2, v6 :: v_dual_dot2acc_f32_f16 v64, v3, v5
	v_dual_dot2acc_f32_f16 v36, v2, v7 :: v_dual_dot2acc_f32_f16 v65, v3, v4
	v_dot2acc_f32_f16 v35, v3, v6
	v_dot2acc_f32_f16 v34, v3, v7
	ds_load_b128 v[0:3], v80 offset:6144
	s_waitcnt lgkmcnt(1)
	v_dot2acc_f32_f16 v63, v8, v12
	v_dot2acc_f32_f16 v62, v8, v13
	v_dual_dot2acc_f32_f16 v17, v8, v14 :: v_dual_dot2acc_f32_f16 v58, v9, v13
	v_dual_dot2acc_f32_f16 v16, v8, v15 :: v_dual_dot2acc_f32_f16 v59, v9, v12
	;; [unrolled: 1-line block ×9, first 2 shown]
	ds_load_b128 v[12:15], v81 offset:22528
	v_dual_dot2acc_f32_f16 v18, v8, v6 :: v_dual_dot2acc_f32_f16 v53, v9, v5
	v_dual_dot2acc_f32_f16 v21, v9, v6 :: v_dual_lshlrev_b32 v8, 1, v85
	s_add_u32 s0, s0, s2
	s_addc_u32 s1, s1, s3
	s_lshl_b32 s2, s40, 1
	s_mov_b32 s3, 0x31004000
	s_lshl_b32 s6, s39, 6
	buffer_load_b64 v[88:89], v8, s[0:3], 0 offen
	v_add_lshl_u32 v8, v85, s6, 1
	v_add_nc_u32_e32 v84, s38, v85
	v_dual_dot2acc_f32_f16 v20, v9, v7 :: v_dual_dot2acc_f32_f16 v47, v10, v5
	v_dual_dot2acc_f32_f16 v48, v10, v4 :: v_dual_dot2acc_f32_f16 v29, v11, v7
	buffer_load_b64 v[90:91], v8, s[0:3], 0 offen
	v_dual_dot2acc_f32_f16 v27, v10, v6 :: v_dual_dot2acc_f32_f16 v56, v11, v5
	s_waitcnt lgkmcnt(0)
	v_dual_dot2acc_f32_f16 v79, v0, v12 :: v_dual_dot2acc_f32_f16 v28, v11, v6
	v_dual_dot2acc_f32_f16 v26, v10, v7 :: v_dual_lshlrev_b32 v85, 1, v84
	v_dot2acc_f32_f16 v55, v11, v4
	ds_load_b128 v[4:7], v81 offset:22784
	ds_load_b128 v[8:11], v80 offset:6400
	v_dot2acc_f32_f16 v39, v2, v15
	buffer_load_b64 v[92:93], v85, s[0:3], 0 offen
	v_add_lshl_u32 v85, v84, s6, 1
	v_add_nc_u32_e32 v84, s38, v84
	v_dot2acc_f32_f16 v66, v3, v13
	v_dual_dot2acc_f32_f16 v78, v0, v13 :: v_dual_dot2acc_f32_f16 v75, v1, v12
	buffer_load_b64 v[94:95], v85, s[0:3], 0 offen
	v_dual_dot2acc_f32_f16 v50, v0, v14 :: v_dual_lshlrev_b32 v85, 1, v84
	v_dot2acc_f32_f16 v71, v2, v12
	v_dual_dot2acc_f32_f16 v49, v0, v15 :: v_dual_dot2acc_f32_f16 v74, v1, v13
	buffer_load_b64 v[96:97], v85, s[0:3], 0 offen
	v_dot2acc_f32_f16 v38, v2, v14
	v_dot2acc_f32_f16 v31, v3, v14
	v_dual_dot2acc_f32_f16 v30, v3, v15 :: v_dual_dot2acc_f32_f16 v41, v1, v14
	s_waitcnt lgkmcnt(1)
	v_dual_dot2acc_f32_f16 v70, v2, v13 :: v_dual_dot2acc_f32_f16 v77, v0, v4
	v_dot2acc_f32_f16 v76, v0, v5
	v_dot2acc_f32_f16 v45, v0, v6
	v_dual_dot2acc_f32_f16 v44, v0, v7 :: v_dual_dot2acc_f32_f16 v73, v1, v4
	v_add_lshl_u32 v0, v84, s6, 1
	s_waitcnt lgkmcnt(0)
	v_dual_dot2acc_f32_f16 v17, v8, v14 :: v_dual_add_nc_u32 v84, s38, v84
	v_dot2acc_f32_f16 v62, v8, v13
	v_dual_dot2acc_f32_f16 v34, v3, v7 :: v_dual_dot2acc_f32_f16 v63, v8, v12
	buffer_load_b64 v[98:99], v0, s[0:3], 0 offen
	v_dual_dot2acc_f32_f16 v16, v8, v15 :: v_dual_lshlrev_b32 v85, 1, v84
	v_dual_dot2acc_f32_f16 v59, v9, v12 :: v_dual_dot2acc_f32_f16 v24, v10, v15
	v_dot2acc_f32_f16 v61, v8, v4
	buffer_load_b64 v[100:101], v85, s[0:3], 0 offen
	v_add_lshl_u32 v85, v84, s6, 1
	v_dual_dot2acc_f32_f16 v46, v11, v12 :: v_dual_dot2acc_f32_f16 v19, v8, v7
	v_dual_dot2acc_f32_f16 v60, v8, v5 :: v_dual_dot2acc_f32_f16 v21, v9, v6
	buffer_load_b64 v[102:103], v85, s[0:3], 0 offen
	v_mad_u64_u32 v[85:86], null, s38, 61, v[84:85]
	v_dual_dot2acc_f32_f16 v33, v11, v15 :: v_dual_dot2acc_f32_f16 v18, v8, v6
	v_dual_dot2acc_f32_f16 v47, v10, v5 :: v_dual_dot2acc_f32_f16 v40, v1, v15
	;; [unrolled: 1-line block ×3, first 2 shown]
	s_delay_alu instid0(VALU_DEP_4)
	v_dual_dot2acc_f32_f16 v69, v2, v4 :: v_dual_lshlrev_b32 v84, 1, v85
	v_add_lshl_u32 v8, v85, s6, 1
	v_dual_dot2acc_f32_f16 v42, v1, v6 :: v_dual_dot2acc_f32_f16 v65, v3, v4
	v_dual_dot2acc_f32_f16 v43, v1, v7 :: v_dual_dot2acc_f32_f16 v68, v2, v5
	v_dual_dot2acc_f32_f16 v37, v2, v6 :: v_dual_dot2acc_f32_f16 v64, v3, v5
	v_dual_dot2acc_f32_f16 v36, v2, v7 :: v_dual_dot2acc_f32_f16 v35, v3, v6
	v_dual_dot2acc_f32_f16 v58, v9, v13 :: v_dual_dot2acc_f32_f16 v25, v10, v14
	v_dual_dot2acc_f32_f16 v23, v9, v14 :: v_dual_dot2acc_f32_f16 v52, v10, v12
	v_dual_dot2acc_f32_f16 v22, v9, v15 :: v_dual_dot2acc_f32_f16 v51, v10, v13
	v_dual_dot2acc_f32_f16 v54, v11, v13 :: v_dual_dot2acc_f32_f16 v57, v9, v4
	v_dual_dot2acc_f32_f16 v32, v11, v14 :: v_dual_dot2acc_f32_f16 v53, v9, v5
	ds_load_b128 v[12:15], v81 offset:23040
	s_clause 0x1
	buffer_load_b64 v[104:105], v84, s[0:3], 0 offen
	buffer_load_b64 v[106:107], v8, s[0:3], 0 offen
	ds_load_b128 v[0:3], v80 offset:6656
	v_dual_dot2acc_f32_f16 v20, v9, v7 :: v_dual_dot2acc_f32_f16 v27, v10, v6
	v_dual_dot2acc_f32_f16 v48, v10, v4 :: v_dual_dot2acc_f32_f16 v29, v11, v7
	;; [unrolled: 1-line block ×3, first 2 shown]
	v_dot2acc_f32_f16 v56, v11, v5
	v_dot2acc_f32_f16 v28, v11, v6
	ds_load_b128 v[4:7], v81 offset:23296
	ds_load_b128 v[8:11], v80 offset:6912
	v_add_nc_u32_e32 v84, s38, v85
	s_mov_b32 s7, s3
	s_add_i32 s8, s35, s34
	s_waitcnt lgkmcnt(2)
	v_dot2acc_f32_f16 v79, v0, v12
	v_lshlrev_b32_e32 v85, 1, v84
	v_dual_dot2acc_f32_f16 v31, v3, v14 :: v_dual_dot2acc_f32_f16 v78, v0, v13
	v_dual_dot2acc_f32_f16 v75, v1, v12 :: v_dual_dot2acc_f32_f16 v50, v0, v14
	v_dot2acc_f32_f16 v71, v2, v12
	buffer_load_b64 v[108:109], v85, s[0:3], 0 offen
	v_add_lshl_u32 v85, v84, s6, 1
	v_add_nc_u32_e32 v84, s38, v84
	v_dual_dot2acc_f32_f16 v38, v2, v14 :: v_dual_dot2acc_f32_f16 v49, v0, v15
	s_waitcnt lgkmcnt(1)
	v_dual_dot2acc_f32_f16 v66, v3, v13 :: v_dual_dot2acc_f32_f16 v77, v0, v4
	buffer_load_b64 v[110:111], v85, s[0:3], 0 offen
	v_dual_dot2acc_f32_f16 v30, v3, v15 :: v_dual_lshlrev_b32 v85, 1, v84
	v_dot2acc_f32_f16 v45, v0, v6
	v_dual_dot2acc_f32_f16 v76, v0, v5 :: v_dual_dot2acc_f32_f16 v73, v1, v4
	buffer_load_b64 v[112:113], v85, s[0:3], 0 offen
	v_dual_dot2acc_f32_f16 v44, v0, v7 :: v_dual_dot2acc_f32_f16 v69, v2, v4
	v_add_lshl_u32 v0, v84, s6, 1
	s_waitcnt lgkmcnt(0)
	v_dual_dot2acc_f32_f16 v17, v8, v14 :: v_dual_add_nc_u32 v84, s38, v84
	v_dot2acc_f32_f16 v34, v3, v7
	v_dual_dot2acc_f32_f16 v74, v1, v13 :: v_dual_dot2acc_f32_f16 v39, v2, v15
	buffer_load_b64 v[114:115], v0, s[0:3], 0 offen
	v_lshlrev_b32_e32 v85, 1, v84
	v_add_lshl_u32 v84, v84, s6, 1
	v_dual_dot2acc_f32_f16 v41, v1, v14 :: v_dual_dot2acc_f32_f16 v70, v2, v13
	v_dual_dot2acc_f32_f16 v40, v1, v15 :: v_dual_dot2acc_f32_f16 v67, v3, v12
	s_clause 0x1
	buffer_load_b64 v[116:117], v85, s[0:3], 0 offen
	buffer_load_b64 v[118:119], v84, s[0:3], 0 offen
	v_dual_dot2acc_f32_f16 v72, v1, v5 :: v_dual_dot2acc_f32_f16 v37, v2, v6
	v_dual_dot2acc_f32_f16 v42, v1, v6 :: v_dual_dot2acc_f32_f16 v65, v3, v4
	;; [unrolled: 1-line block ×5, first 2 shown]
	ds_load_b128 v[0:3], v80 offset:7168
	v_dual_dot2acc_f32_f16 v62, v8, v13 :: v_dual_dot2acc_f32_f16 v59, v9, v12
	v_dual_dot2acc_f32_f16 v16, v8, v15 :: v_dual_dot2acc_f32_f16 v23, v9, v14
	;; [unrolled: 1-line block ×9, first 2 shown]
	ds_load_b128 v[84:87], v81 offset:23552
	ds_load_b128 v[12:15], v81 offset:23808
	v_dual_dot2acc_f32_f16 v60, v8, v5 :: v_dual_dot2acc_f32_f16 v21, v9, v6
	v_dual_dot2acc_f32_f16 v18, v8, v6 :: v_dual_dot2acc_f32_f16 v47, v10, v5
	;; [unrolled: 1-line block ×5, first 2 shown]
	v_dot2acc_f32_f16 v56, v11, v5
	v_dot2acc_f32_f16 v28, v11, v6
	ds_load_b128 v[4:7], v80 offset:7424
	ds_load_b128 v[8:11], v81 offset:24064
	v_cmp_gt_i32_e64 s0, s27, v83
	s_lshl_b32 s6, s36, 1
	s_waitcnt lgkmcnt(3)
	v_dot2acc_f32_f16 v79, v0, v84
	v_dual_dot2acc_f32_f16 v78, v0, v85 :: v_dual_dot2acc_f32_f16 v75, v1, v84
	v_dual_dot2acc_f32_f16 v50, v0, v86 :: v_dual_dot2acc_f32_f16 v71, v2, v84
	;; [unrolled: 1-line block ×3, first 2 shown]
	v_dot2acc_f32_f16 v39, v2, v87
	v_dual_dot2acc_f32_f16 v41, v1, v86 :: v_dual_dot2acc_f32_f16 v70, v2, v85
	v_dual_dot2acc_f32_f16 v40, v1, v87 :: v_dual_dot2acc_f32_f16 v67, v3, v84
	s_waitcnt lgkmcnt(2)
	v_dual_dot2acc_f32_f16 v38, v2, v86 :: v_dual_dot2acc_f32_f16 v77, v0, v12
	v_dual_dot2acc_f32_f16 v66, v3, v85 :: v_dual_dot2acc_f32_f16 v45, v0, v14
	;; [unrolled: 1-line block ×9, first 2 shown]
	s_waitcnt lgkmcnt(1)
	v_dual_dot2acc_f32_f16 v64, v3, v13 :: v_dual_dot2acc_f32_f16 v63, v4, v84
	v_dual_dot2acc_f32_f16 v34, v3, v15 :: v_dual_dot2acc_f32_f16 v17, v4, v86
	ds_load_b128 v[0:3], v80 offset:7680
	v_dual_dot2acc_f32_f16 v62, v4, v85 :: v_dual_dot2acc_f32_f16 v59, v5, v84
	v_dual_dot2acc_f32_f16 v16, v4, v87 :: v_dual_dot2acc_f32_f16 v23, v5, v86
	v_dual_dot2acc_f32_f16 v58, v5, v85 :: v_dual_dot2acc_f32_f16 v25, v6, v86
	v_dual_dot2acc_f32_f16 v22, v5, v87 :: v_dual_dot2acc_f32_f16 v51, v6, v85
	v_dual_dot2acc_f32_f16 v52, v6, v84 :: v_dual_dot2acc_f32_f16 v33, v7, v87
	v_dual_dot2acc_f32_f16 v24, v6, v87 :: v_dual_dot2acc_f32_f16 v61, v4, v12
	v_dual_dot2acc_f32_f16 v46, v7, v84 :: v_dual_dot2acc_f32_f16 v19, v4, v15
	v_dual_dot2acc_f32_f16 v54, v7, v85 :: v_dual_dot2acc_f32_f16 v57, v5, v12
	v_dual_dot2acc_f32_f16 v32, v7, v86 :: v_dual_dot2acc_f32_f16 v53, v5, v13
	v_dual_dot2acc_f32_f16 v60, v4, v13 :: v_dual_dot2acc_f32_f16 v21, v5, v14
	v_dual_dot2acc_f32_f16 v18, v4, v14 :: v_dual_dot2acc_f32_f16 v47, v6, v13
	v_dual_dot2acc_f32_f16 v20, v5, v15 :: v_dual_dot2acc_f32_f16 v27, v6, v14
	v_dual_dot2acc_f32_f16 v48, v6, v12 :: v_dual_dot2acc_f32_f16 v29, v7, v15
	v_dual_dot2acc_f32_f16 v26, v6, v15 :: v_dual_dot2acc_f32_f16 v55, v7, v12
	ds_load_b128 v[84:87], v81 offset:24320
	v_dot2acc_f32_f16 v56, v7, v13
	v_dot2acc_f32_f16 v28, v7, v14
	ds_load_b128 v[4:7], v80 offset:7936
	s_waitcnt lgkmcnt(2)
	v_dot2acc_f32_f16 v49, v0, v11
	v_add_nc_u32_e32 v15, 64, v82
	s_and_b32 s1, s0, vcc_lo
	v_dot2acc_f32_f16 v79, v0, v8
	v_dual_dot2acc_f32_f16 v78, v0, v9 :: v_dual_dot2acc_f32_f16 v75, v1, v8
	v_dual_dot2acc_f32_f16 v50, v0, v10 :: v_dual_dot2acc_f32_f16 v71, v2, v8
	v_dot2acc_f32_f16 v38, v2, v10
	v_dot2acc_f32_f16 v66, v3, v9
	v_dual_dot2acc_f32_f16 v31, v3, v10 :: v_dual_dot2acc_f32_f16 v74, v1, v9
	v_dot2acc_f32_f16 v39, v2, v11
	v_dual_dot2acc_f32_f16 v41, v1, v10 :: v_dual_dot2acc_f32_f16 v70, v2, v9
	v_or_b32_e32 v81, 1, v83
	s_waitcnt lgkmcnt(1)
	v_dot2acc_f32_f16 v77, v0, v84
	v_dot2acc_f32_f16 v76, v0, v85
	s_waitcnt lgkmcnt(0)
	v_dual_dot2acc_f32_f16 v45, v0, v86 :: v_dual_dot2acc_f32_f16 v48, v6, v84
	v_dual_dot2acc_f32_f16 v44, v0, v87 :: v_dual_dot2acc_f32_f16 v69, v2, v84
	;; [unrolled: 1-line block ×19, first 2 shown]
	s_waitcnt vmcnt(15)
	v_cndmask_b32_e64 v12, 0, v89, s1
	v_cndmask_b32_e64 v0, 0, v88, s1
	v_cmp_gt_i32_e64 s1, s31, v15
	v_or_b32_e32 v88, 3, v83
	v_dual_dot2acc_f32_f16 v20, v5, v87 :: v_dual_dot2acc_f32_f16 v27, v6, v86
	s_delay_alu instid0(VALU_DEP_4) | instskip(NEXT) | instid1(VALU_DEP_4)
	v_lshrrev_b32_e32 v1, 16, v0
	s_and_b32 s0, s0, s1
	v_cvt_f32_f16_e32 v0, v0
	s_waitcnt vmcnt(14)
	v_cndmask_b32_e64 v2, 0, v90, s0
	v_cndmask_b32_e64 v80, 0, v91, s0
	v_cmp_gt_i32_e64 s0, s27, v81
	v_cvt_f32_f16_e32 v1, v1
	v_dot2acc_f32_f16 v28, v7, v86
	v_cvt_f32_f16_e32 v3, v2
	v_lshrrev_b32_e32 v2, 16, v2
	v_dot2acc_f32_f16 v56, v7, v85
	s_and_b32 s2, s0, vcc_lo
	s_and_b32 s0, s0, s1
	v_dual_add_f32 v3, v77, v3 :: v_dual_add_f32 v0, v79, v0
	v_cvt_f32_f16_e32 v2, v2
	v_add_f32_e32 v1, v78, v1
	s_waitcnt vmcnt(13)
	v_cndmask_b32_e64 v4, 0, v92, s2
	v_max_f32_e32 v79, 0, v3
	v_dual_dot2acc_f32_f16 v29, v7, v87 :: v_dual_max_f32 v14, 0, v0
	v_add_f32_e32 v0, v76, v2
	s_waitcnt vmcnt(12)
	v_cndmask_b32_e64 v2, 0, v94, s0
	v_or_b32_e32 v85, 2, v83
	v_cndmask_b32_e64 v76, 0, v95, s0
	v_cndmask_b32_e64 v77, 0, v93, s2
	v_dual_dot2acc_f32_f16 v58, v5, v9 :: v_dual_dot2acc_f32_f16 v25, v6, v10
	v_cvt_f32_f16_e32 v3, v2
	v_max_f32_e32 v78, 0, v1
	v_lshrrev_b32_e32 v1, 16, v4
	v_cmp_gt_i32_e64 s0, s27, v85
	v_lshrrev_b32_e32 v2, 16, v2
	v_add_f32_e32 v3, v73, v3
	v_dual_dot2acc_f32_f16 v22, v5, v11 :: v_dual_dot2acc_f32_f16 v51, v6, v9
	v_cvt_f32_f16_e32 v1, v1
	s_and_b32 s2, s0, vcc_lo
	v_cvt_f32_f16_e32 v2, v2
	s_and_b32 s0, s0, s1
	s_waitcnt vmcnt(11)
	v_cndmask_b32_e64 v73, 0, v97, s2
	v_dual_add_f32 v1, v74, v1 :: v_dual_max_f32 v84, 0, v0
	v_cvt_f32_f16_e32 v0, v4
	v_cndmask_b32_e64 v4, 0, v96, s2
	v_dual_dot2acc_f32_f16 v52, v6, v8 :: v_dual_dot2acc_f32_f16 v33, v7, v11
	v_add_nc_u32_e32 v10, 0x42, v83
	s_delay_alu instid0(VALU_DEP_4) | instskip(NEXT) | instid1(VALU_DEP_4)
	v_dual_add_f32 v0, v75, v0 :: v_dual_max_f32 v75, 0, v1
	v_lshrrev_b32_e32 v1, 16, v4
	s_delay_alu instid0(VALU_DEP_1) | instskip(NEXT) | instid1(VALU_DEP_1)
	v_cvt_f32_f16_e32 v1, v1
	v_dual_add_f32 v1, v70, v1 :: v_dual_max_f32 v74, 0, v0
	v_add_f32_e32 v0, v72, v2
	s_waitcnt vmcnt(10)
	v_cndmask_b32_e64 v72, 0, v99, s0
	v_cndmask_b32_e64 v2, 0, v98, s0
	v_cmp_gt_i32_e64 s0, s27, v88
	v_dual_max_f32 v86, 0, v3 :: v_dual_max_f32 v87, 0, v0
	v_cvt_f32_f16_e32 v0, v4
	s_delay_alu instid0(VALU_DEP_4) | instskip(NEXT) | instid1(VALU_DEP_4)
	v_cvt_f32_f16_e32 v3, v2
	s_and_b32 s2, s0, vcc_lo
	v_lshrrev_b32_e32 v2, 16, v2
	s_waitcnt vmcnt(9)
	v_cndmask_b32_e64 v4, 0, v100, s2
	s_and_b32 s0, s0, s1
	v_dual_add_f32 v3, v69, v3 :: v_dual_add_f32 v0, v71, v0
	v_cvt_f32_f16_e32 v2, v2
	v_max_f32_e32 v71, 0, v1
	v_lshrrev_b32_e32 v1, 16, v4
	s_delay_alu instid0(VALU_DEP_4)
	v_max_f32_e32 v89, 0, v3
	v_cvt_f32_f16_e32 v3, v4
	v_max_f32_e32 v70, 0, v0
	v_cndmask_b32_e64 v69, 0, v101, s2
	v_cvt_f32_f16_e32 v1, v1
	v_add_f32_e32 v0, v68, v2
	s_waitcnt vmcnt(8)
	v_cndmask_b32_e64 v2, 0, v102, s0
	v_add_f32_e32 v3, v67, v3
	v_cndmask_b32_e64 v68, 0, v103, s0
	v_dual_add_f32 v5, v66, v1 :: v_dual_max_f32 v90, 0, v0
	s_delay_alu instid0(VALU_DEP_4) | instskip(SKIP_1) | instid1(VALU_DEP_2)
	v_cvt_f32_f16_e32 v4, v2
	v_lshrrev_b32_e32 v2, 16, v2
	v_add_f32_e32 v4, v65, v4
	v_add_nc_u32_e32 v0, 64, v83
	s_delay_alu instid0(VALU_DEP_3) | instskip(SKIP_1) | instid1(VALU_DEP_4)
	v_cvt_f32_f16_e32 v2, v2
	v_max_f32_e32 v65, 0, v3
	v_max_f32_e32 v67, 0, v4
	s_delay_alu instid0(VALU_DEP_4) | instskip(NEXT) | instid1(VALU_DEP_4)
	v_cmp_gt_i32_e64 s0, s27, v0
	v_add_f32_e32 v2, v64, v2
	v_add_nc_u32_e32 v4, 0x41, v83
	s_delay_alu instid0(VALU_DEP_3)
	s_and_b32 s2, s0, vcc_lo
	s_and_b32 s0, s0, s1
	s_waitcnt vmcnt(7)
	v_cndmask_b32_e64 v6, 0, v104, s2
	s_waitcnt vmcnt(6)
	v_cndmask_b32_e64 v7, 0, v106, s0
	v_max_f32_e32 v64, 0, v2
	v_cndmask_b32_e64 v1, 0, v105, s2
	v_lshrrev_b32_e32 v3, 16, v6
	v_cvt_f32_f16_e32 v2, v6
	v_cvt_f32_f16_e32 v6, v7
	v_lshrrev_b32_e32 v7, 16, v7
	s_delay_alu instid0(VALU_DEP_4) | instskip(NEXT) | instid1(VALU_DEP_4)
	v_cvt_f32_f16_e32 v3, v3
	v_add_f32_e32 v2, v63, v2
	s_delay_alu instid0(VALU_DEP_4) | instskip(NEXT) | instid1(VALU_DEP_4)
	v_add_f32_e32 v6, v61, v6
	v_cvt_f32_f16_e32 v7, v7
	v_max_f32_e32 v66, 0, v5
	v_cndmask_b32_e64 v5, 0, v107, s0
	v_cmp_gt_i32_e64 s0, s27, v4
	s_delay_alu instid0(VALU_DEP_4) | instskip(NEXT) | instid1(VALU_DEP_2)
	v_add_f32_e32 v7, v60, v7
	s_and_b32 s2, s0, vcc_lo
	s_and_b32 s0, s0, s1
	s_waitcnt vmcnt(5)
	v_cndmask_b32_e64 v9, 0, v108, s2
	s_waitcnt vmcnt(4)
	v_cndmask_b32_e64 v13, 0, v110, s0
	v_cndmask_b32_e64 v61, 0, v109, s2
	v_max_f32_e32 v7, 0, v7
	v_cvt_f32_f16_e32 v11, v9
	s_delay_alu instid0(VALU_DEP_2) | instskip(NEXT) | instid1(VALU_DEP_2)
	v_cvt_f16_f32_e32 v7, v7
	v_add_f32_e32 v11, v59, v11
	v_lshrrev_b32_e32 v59, 16, v13
	v_cvt_f32_f16_e32 v13, v13
	s_delay_alu instid0(VALU_DEP_1) | instskip(SKIP_1) | instid1(VALU_DEP_4)
	v_dual_add_f32 v13, v57, v13 :: v_dual_add_f32 v8, v62, v3
	v_max_f32_e32 v3, 0, v2
	v_cvt_f32_f16_e32 v57, v59
	s_delay_alu instid0(VALU_DEP_3) | instskip(SKIP_4) | instid1(VALU_DEP_4)
	v_dual_max_f32 v63, 0, v13 :: v_dual_max_f32 v2, 0, v8
	v_lshrrev_b32_e32 v8, 16, v9
	v_cndmask_b32_e64 v9, 0, v111, s0
	v_cmp_gt_i32_e64 s0, s27, v10
	v_cvt_f16_f32_e32 v3, v3
	v_cvt_f32_f16_e32 v8, v8
	s_delay_alu instid0(VALU_DEP_3)
	s_and_b32 s2, s0, vcc_lo
	s_and_b32 s0, s0, s1
	s_waitcnt vmcnt(3)
	v_cndmask_b32_e64 v62, 0, v112, s2
	v_add_f32_e32 v8, v58, v8
	v_max_f32_e32 v58, 0, v11
	v_cndmask_b32_e64 v60, 0, v113, s2
	s_lshl_b32 s2, s35, 6
	v_lshrrev_b32_e32 v11, 16, v62
	v_cvt_f32_f16_e32 v13, v62
	v_dual_max_f32 v59, 0, v8 :: v_dual_add_nc_u32 v62, 0x43, v83
	v_add_f32_e32 v8, v53, v57
	s_delay_alu instid0(VALU_DEP_4)
	v_cvt_f32_f16_e32 v11, v11
	s_waitcnt vmcnt(2)
	v_cndmask_b32_e64 v57, 0, v114, s0
	v_cndmask_b32_e64 v53, 0, v115, s0
	v_cmp_gt_i32_e64 s0, s27, v62
	v_add_f32_e32 v13, v52, v13
	v_dual_add_f32 v11, v51, v11 :: v_dual_max_f32 v6, 0, v6
	v_cvt_f32_f16_e32 v51, v57
	s_delay_alu instid0(VALU_DEP_4) | instskip(NEXT) | instid1(VALU_DEP_2)
	s_and_b32 vcc_lo, s0, vcc_lo
	v_dual_max_f32 v52, 0, v13 :: v_dual_max_f32 v91, 0, v11
	v_lshrrev_b32_e32 v11, 16, v57
	s_delay_alu instid0(VALU_DEP_3)
	v_add_f32_e32 v13, v48, v51
	s_waitcnt vmcnt(1)
	v_dual_cndmask_b32 v51, 0, v116 :: v_dual_cndmask_b32 v48, 0, v117
	s_and_b32 vcc_lo, s0, s1
	v_cvt_f32_f16_e32 v11, v11
	s_waitcnt vmcnt(0)
	v_dual_cndmask_b32 v57, 0, v119 :: v_dual_max_f32 v8, 0, v8
	v_cndmask_b32_e32 v92, 0, v118, vcc_lo
	v_cvt_f32_f16_e32 v93, v51
	v_add_f32_e32 v11, v47, v11
	v_lshrrev_b32_e32 v47, 16, v51
	v_max_f32_e32 v51, 0, v13
	v_cmp_gt_i32_e32 vcc_lo, s24, v82
	s_delay_alu instid0(VALU_DEP_4) | instskip(NEXT) | instid1(VALU_DEP_4)
	v_dual_add_f32 v46, v46, v93 :: v_dual_max_f32 v93, 0, v11
	v_cvt_f32_f16_e32 v11, v47
	v_cvt_f32_f16_e32 v47, v92
	v_cmp_gt_i32_e64 s1, s11, v83
	v_cvt_f16_f32_e32 v8, v8
	v_cvt_f16_f32_e32 v6, v6
	v_add_f32_e32 v54, v54, v11
	v_add_f32_e32 v47, v55, v47
	v_mul_lo_u32 v11, v83, s34
	s_and_b32 s0, s1, vcc_lo
	v_cvt_f16_f32_e32 v2, v2
	s_delay_alu instid0(VALU_DEP_3) | instskip(SKIP_3) | instid1(VALU_DEP_3)
	v_max_f32_e32 v47, 0, v47
	v_lshrrev_b32_e32 v13, 16, v92
	v_lshrrev_b32_e32 v92, 16, v12
	v_cvt_f32_f16_e32 v12, v12
	v_cvt_f32_f16_e32 v13, v13
	s_delay_alu instid0(VALU_DEP_3) | instskip(NEXT) | instid1(VALU_DEP_2)
	v_cvt_f32_f16_e32 v55, v92
	v_dual_add_f32 v50, v50, v12 :: v_dual_add_f32 v13, v56, v13
	s_delay_alu instid0(VALU_DEP_2) | instskip(SKIP_1) | instid1(VALU_DEP_3)
	v_dual_add_f32 v49, v49, v55 :: v_dual_max_f32 v46, 0, v46
	v_cvt_f32_f16_e32 v55, v77
	v_max_f32_e32 v56, 0, v13
	v_mad_u64_u32 v[12:13], null, v82, s35, v[11:12]
	v_cvt_f16_f32_e32 v11, v14
	v_dual_max_f32 v13, 0, v49 :: v_dual_max_f32 v14, 0, v50
	v_cvt_f16_f32_e32 v49, v78
	v_add_f32_e32 v41, v41, v55
	s_delay_alu instid0(VALU_DEP_3) | instskip(NEXT) | instid1(VALU_DEP_4)
	v_cvt_f16_f32_e32 v50, v13
	v_cvt_f16_f32_e32 v14, v14
	s_delay_alu instid0(VALU_DEP_4)
	v_pack_b32_f16 v13, v11, v49
	v_lshrrev_b32_e32 v11, 16, v80
	v_cndmask_b32_e64 v49, 0x80000000, 0, s0
	v_cmp_gt_i32_e64 s0, s24, v15
	v_pack_b32_f16 v14, v14, v50
	v_cvt_f32_f16_e32 v50, v80
	v_cvt_f32_f16_e32 v11, v11
	v_lshl_add_u32 v49, v12, 1, v49
	v_cvt_f16_f32_e32 v15, v84
	s_and_b32 s1, s1, s0
	s_delay_alu instid0(VALU_DEP_3)
	v_dual_add_f32 v11, v44, v11 :: v_dual_add_f32 v44, v45, v50
	buffer_store_b64 v[13:14], v49, s[4:7], 0 offen
	v_dual_max_f32 v54, 0, v54 :: v_dual_add_nc_u32 v45, s2, v12
	v_max_f32_e32 v11, 0, v11
	v_cvt_f32_f16_e32 v50, v76
	v_max_f32_e32 v14, 0, v44
	v_lshrrev_b32_e32 v44, 16, v76
	v_cvt_f16_f32_e32 v13, v79
	v_cvt_f16_f32_e32 v11, v11
	v_cndmask_b32_e64 v49, 0x80000000, 0, s1
	v_cvt_f16_f32_e32 v14, v14
	v_cvt_f32_f16_e32 v44, v44
	v_pack_b32_f16 v13, v13, v15
	v_cmp_gt_i32_e64 s1, s11, v81
	s_delay_alu instid0(VALU_DEP_4)
	v_pack_b32_f16 v14, v14, v11
	v_add_f32_e32 v11, v42, v50
	v_add_f32_e32 v15, v43, v44
	v_lshrrev_b32_e32 v42, 16, v77
	v_lshl_add_u32 v44, v45, 1, v49
	v_cvt_f16_f32_e32 v43, v86
	v_cvt_f16_f32_e32 v49, v87
	v_max_f32_e32 v15, 0, v15
	v_cvt_f32_f16_e32 v50, v42
	v_max_f32_e32 v11, 0, v11
	s_and_b32 s3, s1, s0
	v_pack_b32_f16 v42, v43, v49
	v_cvt_f16_f32_e32 v15, v15
	v_add_f32_e32 v40, v40, v50
	v_cvt_f16_f32_e32 v11, v11
	v_add_nc_u32_e32 v45, s34, v45
	v_cvt_f16_f32_e32 v49, v75
	v_lshrrev_b32_e32 v50, 16, v73
	s_and_b32 s1, s1, vcc_lo
	v_pack_b32_f16 v43, v11, v15
	v_dual_max_f32 v15, 0, v40 :: v_dual_max_f32 v40, 0, v41
	v_cndmask_b32_e64 v11, 0x80000000, 0, s3
	v_add_nc_u32_e32 v41, s34, v12
	v_cvt_f16_f32_e32 v12, v74
	s_delay_alu instid0(VALU_DEP_4)
	v_cvt_f16_f32_e32 v15, v15
	v_cvt_f16_f32_e32 v40, v40
	v_cndmask_b32_e64 v55, 0x80000000, 0, s1
	v_lshl_add_u32 v74, v45, 1, v11
	v_pack_b32_f16 v11, v12, v49
	buffer_store_b64 v[13:14], v44, s[4:7], 0 offen
	v_pack_b32_f16 v12, v40, v15
	v_cvt_f32_f16_e32 v15, v50
	v_cvt_f32_f16_e32 v13, v73
	buffer_store_b64 v[42:43], v74, s[4:7], 0 offen
	v_cmp_gt_i32_e64 s1, s11, v85
	v_lshrrev_b32_e32 v43, 16, v69
	v_add_f32_e32 v14, v39, v15
	v_lshl_add_u32 v40, v41, 1, v55
	v_cvt_f32_f16_e32 v39, v72
	v_add_nc_u32_e32 v15, s34, v41
	s_and_b32 s3, s1, vcc_lo
	s_and_b32 s1, s1, s0
	buffer_store_b64 v[11:12], v40, s[4:7], 0 offen
	v_add_f32_e32 v11, v38, v13
	v_max_f32_e32 v13, 0, v14
	v_lshrrev_b32_e32 v14, 16, v72
	v_cvt_f16_f32_e32 v12, v70
	v_cvt_f16_f32_e32 v38, v71
	v_max_f32_e32 v11, 0, v11
	v_cvt_f16_f32_e32 v13, v13
	v_cvt_f32_f16_e32 v14, v14
	v_cndmask_b32_e64 v41, 0x80000000, 0, s3
	s_delay_alu instid0(VALU_DEP_4) | instskip(SKIP_1) | instid1(VALU_DEP_4)
	v_cvt_f16_f32_e32 v40, v11
	v_pack_b32_f16 v11, v12, v38
	v_add_f32_e32 v14, v36, v14
	v_add_f32_e32 v36, v37, v39
	v_lshl_add_u32 v15, v15, 1, v41
	v_pack_b32_f16 v12, v40, v13
	v_cvt_f32_f16_e32 v40, v68
	s_delay_alu instid0(VALU_DEP_4) | instskip(SKIP_2) | instid1(VALU_DEP_4)
	v_dual_max_f32 v13, 0, v14 :: v_dual_max_f32 v14, 0, v36
	v_lshrrev_b32_e32 v36, 16, v68
	v_cvt_f16_f32_e32 v37, v89
	v_add_f32_e32 v35, v35, v40
	v_cvt_f16_f32_e32 v38, v90
	v_cvt_f16_f32_e32 v39, v13
	v_cvt_f32_f16_e32 v36, v36
	v_cvt_f16_f32_e32 v14, v14
	v_max_f32_e32 v35, 0, v35
	v_add_nc_u32_e32 v41, s34, v45
	v_pack_b32_f16 v13, v37, v38
	v_add_f32_e32 v34, v34, v36
	v_cndmask_b32_e64 v36, 0x80000000, 0, s1
	v_cmp_gt_i32_e64 s1, s11, v88
	v_cvt_f16_f32_e32 v35, v35
	v_pack_b32_f16 v14, v14, v39
	v_dual_max_f32 v34, 0, v34 :: v_dual_add_nc_u32 v37, s34, v41
	s_delay_alu instid0(VALU_DEP_4) | instskip(SKIP_2) | instid1(VALU_DEP_3)
	s_and_b32 s3, s1, s0
	v_cvt_f16_f32_e32 v38, v67
	v_cvt_f16_f32_e32 v39, v64
	;; [unrolled: 1-line block ×3, first 2 shown]
	v_cndmask_b32_e64 v42, 0x80000000, 0, s3
	v_lshl_add_u32 v36, v41, 1, v36
	s_and_b32 s1, s1, vcc_lo
	v_pack_b32_f16 v34, v38, v39
	v_pack_b32_f16 v35, v35, v40
	v_cvt_f32_f16_e32 v40, v69
	v_lshl_add_u32 v38, v37, 1, v42
	v_cvt_f32_f16_e32 v39, v43
	s_clause 0x2
	buffer_store_b64 v[11:12], v15, s[4:7], 0 offen
	buffer_store_b64 v[13:14], v36, s[4:7], 0 offen
	;; [unrolled: 1-line block ×3, first 2 shown]
	v_add_f32_e32 v12, v31, v40
	v_subrev_nc_u32_e32 v13, s2, v37
	v_cvt_f32_f16_e32 v31, v48
	v_lshrrev_b32_e32 v15, 16, v48
	v_cvt_f16_f32_e32 v14, v65
	s_delay_alu instid0(VALU_DEP_4) | instskip(NEXT) | instid1(VALU_DEP_4)
	v_dual_max_f32 v12, 0, v12 :: v_dual_lshlrev_b32 v35, 1, v13
	v_add_f32_e32 v31, v32, v31
	v_cndmask_b32_e64 v32, 0x80000000, 0, s1
	v_add_f32_e32 v11, v30, v39
	v_cvt_f32_f16_e32 v15, v15
	v_cvt_f16_f32_e32 v30, v66
	v_cvt_f16_f32_e32 v12, v12
	v_cmp_gt_i32_e64 s1, s11, v62
	v_max_f32_e32 v11, 0, v11
	v_add_f32_e32 v15, v33, v15
	v_cvt_f32_f16_e32 v33, v53
	s_delay_alu instid0(VALU_DEP_4) | instskip(NEXT) | instid1(VALU_DEP_3)
	s_and_b32 s3, s1, vcc_lo
	v_cvt_f16_f32_e32 v34, v11
	v_pack_b32_f16 v11, v14, v30
	v_max_f32_e32 v14, 0, v31
	v_dual_max_f32 v15, 0, v15 :: v_dual_add_nc_u32 v30, v35, v32
	s_delay_alu instid0(VALU_DEP_4) | instskip(SKIP_1) | instid1(VALU_DEP_4)
	v_pack_b32_f16 v12, v12, v34
	v_cvt_f16_f32_e32 v31, v46
	v_cvt_f16_f32_e32 v14, v14
	s_delay_alu instid0(VALU_DEP_4)
	v_cvt_f16_f32_e32 v15, v15
	v_cvt_f16_f32_e32 v32, v54
	buffer_store_b64 v[11:12], v30, s[4:7], 0 offen
	v_lshrrev_b32_e32 v30, 16, v57
	s_and_b32 s1, s1, s0
	v_pack_b32_f16 v12, v14, v15
	v_cvt_f32_f16_e32 v14, v57
	v_pack_b32_f16 v11, v31, v32
	v_cvt_f32_f16_e32 v15, v30
	v_cndmask_b32_e64 v30, 0x80000000, 0, s3
	s_lshl_b32 s3, s34, 7
	v_add_f32_e32 v14, v28, v14
	v_cvt_f16_f32_e32 v31, v56
	v_add_f32_e32 v15, v29, v15
	v_lshl_add_u32 v29, s8, 6, v13
	v_cndmask_b32_e64 v34, 0x80000000, 0, s1
	v_max_f32_e32 v13, 0, v14
	v_cmp_ge_i32_e64 s1, s11, v62
	v_max_f32_e32 v14, 0, v15
	v_lshrrev_b32_e32 v15, 16, v53
	v_add3_u32 v28, v30, s3, v35
	v_cvt_f16_f32_e32 v30, v47
	v_cvt_f16_f32_e32 v32, v13
	;; [unrolled: 1-line block ×3, first 2 shown]
	v_cvt_f32_f16_e32 v15, v15
	s_and_b32 s1, s1, s0
	v_pack_b32_f16 v13, v30, v31
	v_cvt_f16_f32_e32 v31, v93
	v_pack_b32_f16 v14, v32, v14
	v_dual_add_f32 v15, v26, v15 :: v_dual_add_f32 v26, v27, v33
	v_cvt_f16_f32_e32 v27, v51
	v_lshrrev_b32_e32 v33, 16, v60
	v_lshl_add_u32 v30, v29, 1, v34
	s_delay_alu instid0(VALU_DEP_4)
	v_dual_max_f32 v15, 0, v15 :: v_dual_max_f32 v26, 0, v26
	v_subrev_nc_u32_e32 v29, s34, v29
	v_cndmask_b32_e64 v34, 0x80000000, 0, s1
	s_clause 0x1
	buffer_store_b64 v[11:12], v28, s[4:7], 0 offen
	buffer_store_b64 v[13:14], v30, s[4:7], 0 offen
	v_cvt_f16_f32_e32 v15, v15
	v_cvt_f16_f32_e32 v32, v26
	v_pack_b32_f16 v26, v27, v31
	v_cvt_f32_f16_e32 v31, v60
	v_cvt_f16_f32_e32 v14, v52
	v_cmp_gt_i32_e64 s1, s11, v10
	v_pack_b32_f16 v27, v32, v15
	v_cvt_f32_f16_e32 v15, v33
	v_lshl_add_u32 v32, v29, 1, v34
	v_add_f32_e32 v12, v25, v31
	s_and_b32 s1, s1, vcc_lo
	v_subrev_nc_u32_e32 v13, s2, v29
	v_add_f32_e32 v11, v24, v15
	v_lshrrev_b32_e32 v24, 16, v61
	buffer_store_b64 v[26:27], v32, s[4:7], 0 offen
	v_max_f32_e32 v12, 0, v12
	v_cvt_f16_f32_e32 v15, v91
	v_max_f32_e32 v11, 0, v11
	v_cvt_f32_f16_e32 v26, v61
	v_cvt_f32_f16_e32 v24, v24
	v_cvt_f16_f32_e32 v12, v12
	v_cndmask_b32_e64 v27, 0x80000000, 0, s1
	v_cvt_f16_f32_e32 v25, v11
	v_pack_b32_f16 v11, v14, v15
	v_dual_add_f32 v14, v22, v24 :: v_dual_add_f32 v15, v23, v26
	v_cmp_ge_i32_e64 s1, s11, v10
	s_delay_alu instid0(VALU_DEP_4) | instskip(SKIP_1) | instid1(VALU_DEP_4)
	v_pack_b32_f16 v12, v12, v25
	v_lshrrev_b32_e32 v25, 16, v9
	v_dual_max_f32 v14, 0, v14 :: v_dual_max_f32 v15, 0, v15
	v_cvt_f16_f32_e32 v23, v58
	v_cvt_f16_f32_e32 v24, v59
	s_delay_alu instid0(VALU_DEP_4) | instskip(NEXT) | instid1(VALU_DEP_4)
	v_cvt_f32_f16_e32 v25, v25
	v_cvt_f16_f32_e32 v10, v14
	v_cvt_f16_f32_e32 v14, v15
	v_cvt_f32_f16_e32 v15, v9
	s_and_b32 s1, s1, vcc_lo
	v_lshl_add_u32 v22, v13, 1, v27
	v_cndmask_b32_e64 v26, 0x80000000, 0, s1
	v_pack_b32_f16 v10, v14, v10
	v_dual_add_f32 v14, v20, v25 :: v_dual_add_f32 v15, v21, v15
	v_cmp_gt_i32_e64 s1, s11, v4
	v_subrev_nc_u32_e32 v13, s34, v13
	v_pack_b32_f16 v9, v23, v24
	s_delay_alu instid0(VALU_DEP_4)
	v_dual_max_f32 v14, 0, v14 :: v_dual_max_f32 v15, 0, v15
	v_lshrrev_b32_e32 v23, 16, v5
	v_cvt_f32_f16_e32 v5, v5
	s_and_b32 s1, s1, s0
	v_lshl_add_u32 v20, v13, 1, v26
	v_cvt_f16_f32_e32 v14, v14
	v_cvt_f16_f32_e32 v15, v15
	v_cvt_f32_f16_e32 v23, v23
	v_add_nc_u32_e32 v21, s2, v13
	v_cvt_f16_f32_e32 v13, v63
	v_cndmask_b32_e64 v24, 0x80000000, 0, s1
	v_add_f32_e32 v5, v18, v5
	v_lshrrev_b32_e32 v18, 16, v1
	v_pack_b32_f16 v14, v15, v14
	v_pack_b32_f16 v13, v13, v8
	v_add_f32_e32 v8, v19, v23
	v_lshl_add_u32 v15, v21, 1, v24
	v_subrev_nc_u32_e32 v19, s34, v21
	v_max_f32_e32 v21, 0, v5
	v_pack_b32_f16 v5, v6, v7
	v_cvt_f32_f16_e32 v7, v18
	v_cvt_f32_f16_e32 v1, v1
	v_cmp_ge_i32_e64 s1, s11, v4
	v_cmp_gt_i32_e64 s2, s11, v0
	s_delay_alu instid0(VALU_DEP_4) | instskip(NEXT) | instid1(VALU_DEP_4)
	v_dual_max_f32 v8, 0, v8 :: v_dual_add_f32 v7, v16, v7
	v_add_f32_e32 v1, v17, v1
	s_delay_alu instid0(VALU_DEP_4)
	s_and_b32 s0, s1, s0
	v_lshlrev_b32_e32 v4, 1, v19
	v_cndmask_b32_e64 v0, 0x80000000, 0, s0
	s_and_b32 s0, s2, vcc_lo
	v_max_f32_e32 v7, 0, v7
	v_max_f32_e32 v1, 0, v1
	v_cndmask_b32_e64 v16, 0x80000000, 0, s0
	s_lshl_b32 s0, s35, 7
	v_cvt_f16_f32_e32 v6, v8
	v_cvt_f16_f32_e32 v8, v21
	;; [unrolled: 1-line block ×4, first 2 shown]
	v_subrev_nc_u32_e32 v16, s0, v16
	s_delay_alu instid0(VALU_DEP_4)
	v_pack_b32_f16 v6, v8, v6
	v_add_nc_u32_e32 v8, v4, v0
	v_pack_b32_f16 v0, v3, v2
	v_pack_b32_f16 v1, v1, v7
	v_add_nc_u32_e32 v2, v16, v4
	s_clause 0x4
	buffer_store_b64 v[11:12], v22, s[4:7], 0 offen
	buffer_store_b64 v[9:10], v20, s[4:7], 0 offen
	;; [unrolled: 1-line block ×5, first 2 shown]
	s_nop 0
	s_sendmsg sendmsg(MSG_DEALLOC_VGPRS)
	s_endpgm
	.section	.rodata,"a",@progbits
	.p2align	6, 0x0
	.amdhsa_kernel _ZN2ck16tensor_operation6device12_GLOBAL__N_137kernel_grouped_conv_fwd_dl_multiple_dINS_32GridwiseGemmDlMultipleD_km_kn_mnILi256EDF16_fNS_5TupleIJDF16_EEEDF16_NS0_12element_wise11PassThroughES8_NS7_7AddReluELNS_25InMemoryDataOperationEnumE0ENS_16TensorDescriptorINS5_IJNS_5EmbedINS5_IJiiiEEESD_Lb0EEENS_11PassThroughIiEENS_3PadIiiiLb0EEESG_SG_NSC_INS5_IJiiEEESJ_Lb0EEESG_NS_23Merge_v2_magic_divisionISJ_EESM_NS_8RightPadIiiLb0EEESO_NS_7UnMergeISJ_Lb0EEESG_EEENS5_IJNS_8SequenceIJLi0EEEENSS_IJLi1EEEENSS_IJLi2EEEENSS_IJLi3EEEENSS_IJLi4EEEENSS_IJLi5EEEENSS_IJLi6EEEENSS_IJLi7ELi9EEEENSS_IJLi8ELi10EEEENSS_IJLi11EEEENSS_IJLi12EEEENSS_IJLi14EEEENSS_IJLi13EEEEEEENS5_IJNSS_IJLi1ELi2ELi3EEEESX_SY_SZ_NSS_IJLi7EEEENSS_IJLi8ELi9EEEENSS_IJLi10EEEES12_S13_S15_S14_NSS_IJLi15ELi16EEEENSS_IJLi17EEEEEEENSS_IJLi15ELi17ELi16EEEElEENSB_INS5_IJSQ_SO_SO_SQ_SG_EEENS5_IJST_SU_SV_SX_SW_EEENS5_IJNSS_IJLi1ELi2EEEESW_SX_NSS_IJLi5ELi6EEEES18_EEENSS_IJLi5ELi7ELi6EEEElEENSB_INS5_IJSK_SO_SO_EEENS5_IJST_SU_SV_EEENS5_IJS1I_SW_SX_EEENSS_IJLi3ELi4EEEElEELi128ELi128ELi16ELi2ELi4ELi4ELi1ENSS_IJLi8ELi2EEEES1S_NSS_IJLi8ELi1ELi1ELi2EEEENSS_IJLi2ELi1ELi128ELi1EEEENSS_IJLi1ELi2ELi0ELi3EEEES1V_NSS_IJLi4ELi1ELi1ELi2EEEES1V_NSS_IJLi1ELi1ELi1ELi2EEEES1T_S1U_S1V_S1V_S1W_S1V_S1X_NSS_IJLi0ELi1ELi2ELi3ELi4ELi5EEEELi5ELi4EEEDF16_NS5_IJPKDF16_EEEDF16_S8_S8_S9_NSB_INS5_IJSE_SG_SI_SG_SG_SK_SG_SM_SM_SO_SO_SQ_SG_SG_NSP_INS5_IJiNS_17integral_constantIiLi128EEEEEELb0EEENSF_INS23_IiLi2EEEEEEEENS5_IJST_SU_SV_SW_SX_SY_SZ_S10_S11_S12_S13_S14_S15_NSS_IJLi15EEEES1C_NSS_IJLi16EEEEEEENS5_IJS17_SX_SY_SZ_S18_S19_S1A_S12_S13_S15_S14_S1B_S1C_NSS_IJLi18EEEENSS_IJLi19ELi20EEEENSS_IJLi21EEEEEEENSS_IJLi18ELi19ELi20ELi21EEEElEENSB_INS5_IJSQ_SO_SO_SQ_SG_SG_S26_S28_EEENS5_IJST_SU_SV_SX_SW_SY_S18_SZ_EEENS5_IJS1I_SW_SX_S1J_S18_NSS_IJLi8EEEENSS_IJLi9ELi10EEEES12_EEENSS_IJLi8ELi9ELi10ELi11EEEElEENS5_IJNSB_INS5_IJSK_SO_SO_NSP_INS5_IJiS27_NS23_IiLi64EEEEEELb0EEES2S_EEENS5_IJST_SU_SV_SW_SX_EEENS5_IJS1I_SW_SX_NSS_IJLi5ELi6ELi7EEEENSS_IJLi8ELi9ELi10EEEEEEENSS_IJLi5ELi6ELi7ELi8ELi9ELi10EEEElEEEEES2Z_NS_31BlockToCTileMap_M00_N00_M01_N01ILi128ELi128ES1R_Lb0EEENS1_30ComputePtrOffsetOfStridedBatchILi1ELi1ELi1EvEELb1ELb0EEEvPKT0_S37_T1_PT2_T3_T4_T5_iT6_T7_T8_T9_T10_T11_
		.amdhsa_group_segment_fixed_size 32768
		.amdhsa_private_segment_fixed_size 0
		.amdhsa_kernarg_size 904
		.amdhsa_user_sgpr_count 15
		.amdhsa_user_sgpr_dispatch_ptr 0
		.amdhsa_user_sgpr_queue_ptr 0
		.amdhsa_user_sgpr_kernarg_segment_ptr 1
		.amdhsa_user_sgpr_dispatch_id 0
		.amdhsa_user_sgpr_private_segment_size 0
		.amdhsa_wavefront_size32 1
		.amdhsa_uses_dynamic_stack 0
		.amdhsa_enable_private_segment 0
		.amdhsa_system_sgpr_workgroup_id_x 1
		.amdhsa_system_sgpr_workgroup_id_y 0
		.amdhsa_system_sgpr_workgroup_id_z 0
		.amdhsa_system_sgpr_workgroup_info 0
		.amdhsa_system_vgpr_workitem_id 0
		.amdhsa_next_free_vgpr 128
		.amdhsa_next_free_sgpr 61
		.amdhsa_reserve_vcc 1
		.amdhsa_float_round_mode_32 0
		.amdhsa_float_round_mode_16_64 0
		.amdhsa_float_denorm_mode_32 3
		.amdhsa_float_denorm_mode_16_64 3
		.amdhsa_dx10_clamp 1
		.amdhsa_ieee_mode 1
		.amdhsa_fp16_overflow 0
		.amdhsa_workgroup_processor_mode 1
		.amdhsa_memory_ordered 1
		.amdhsa_forward_progress 0
		.amdhsa_shared_vgpr_count 0
		.amdhsa_exception_fp_ieee_invalid_op 0
		.amdhsa_exception_fp_denorm_src 0
		.amdhsa_exception_fp_ieee_div_zero 0
		.amdhsa_exception_fp_ieee_overflow 0
		.amdhsa_exception_fp_ieee_underflow 0
		.amdhsa_exception_fp_ieee_inexact 0
		.amdhsa_exception_int_div_zero 0
	.end_amdhsa_kernel
	.section	.text._ZN2ck16tensor_operation6device12_GLOBAL__N_137kernel_grouped_conv_fwd_dl_multiple_dINS_32GridwiseGemmDlMultipleD_km_kn_mnILi256EDF16_fNS_5TupleIJDF16_EEEDF16_NS0_12element_wise11PassThroughES8_NS7_7AddReluELNS_25InMemoryDataOperationEnumE0ENS_16TensorDescriptorINS5_IJNS_5EmbedINS5_IJiiiEEESD_Lb0EEENS_11PassThroughIiEENS_3PadIiiiLb0EEESG_SG_NSC_INS5_IJiiEEESJ_Lb0EEESG_NS_23Merge_v2_magic_divisionISJ_EESM_NS_8RightPadIiiLb0EEESO_NS_7UnMergeISJ_Lb0EEESG_EEENS5_IJNS_8SequenceIJLi0EEEENSS_IJLi1EEEENSS_IJLi2EEEENSS_IJLi3EEEENSS_IJLi4EEEENSS_IJLi5EEEENSS_IJLi6EEEENSS_IJLi7ELi9EEEENSS_IJLi8ELi10EEEENSS_IJLi11EEEENSS_IJLi12EEEENSS_IJLi14EEEENSS_IJLi13EEEEEEENS5_IJNSS_IJLi1ELi2ELi3EEEESX_SY_SZ_NSS_IJLi7EEEENSS_IJLi8ELi9EEEENSS_IJLi10EEEES12_S13_S15_S14_NSS_IJLi15ELi16EEEENSS_IJLi17EEEEEEENSS_IJLi15ELi17ELi16EEEElEENSB_INS5_IJSQ_SO_SO_SQ_SG_EEENS5_IJST_SU_SV_SX_SW_EEENS5_IJNSS_IJLi1ELi2EEEESW_SX_NSS_IJLi5ELi6EEEES18_EEENSS_IJLi5ELi7ELi6EEEElEENSB_INS5_IJSK_SO_SO_EEENS5_IJST_SU_SV_EEENS5_IJS1I_SW_SX_EEENSS_IJLi3ELi4EEEElEELi128ELi128ELi16ELi2ELi4ELi4ELi1ENSS_IJLi8ELi2EEEES1S_NSS_IJLi8ELi1ELi1ELi2EEEENSS_IJLi2ELi1ELi128ELi1EEEENSS_IJLi1ELi2ELi0ELi3EEEES1V_NSS_IJLi4ELi1ELi1ELi2EEEES1V_NSS_IJLi1ELi1ELi1ELi2EEEES1T_S1U_S1V_S1V_S1W_S1V_S1X_NSS_IJLi0ELi1ELi2ELi3ELi4ELi5EEEELi5ELi4EEEDF16_NS5_IJPKDF16_EEEDF16_S8_S8_S9_NSB_INS5_IJSE_SG_SI_SG_SG_SK_SG_SM_SM_SO_SO_SQ_SG_SG_NSP_INS5_IJiNS_17integral_constantIiLi128EEEEEELb0EEENSF_INS23_IiLi2EEEEEEEENS5_IJST_SU_SV_SW_SX_SY_SZ_S10_S11_S12_S13_S14_S15_NSS_IJLi15EEEES1C_NSS_IJLi16EEEEEEENS5_IJS17_SX_SY_SZ_S18_S19_S1A_S12_S13_S15_S14_S1B_S1C_NSS_IJLi18EEEENSS_IJLi19ELi20EEEENSS_IJLi21EEEEEEENSS_IJLi18ELi19ELi20ELi21EEEElEENSB_INS5_IJSQ_SO_SO_SQ_SG_SG_S26_S28_EEENS5_IJST_SU_SV_SX_SW_SY_S18_SZ_EEENS5_IJS1I_SW_SX_S1J_S18_NSS_IJLi8EEEENSS_IJLi9ELi10EEEES12_EEENSS_IJLi8ELi9ELi10ELi11EEEElEENS5_IJNSB_INS5_IJSK_SO_SO_NSP_INS5_IJiS27_NS23_IiLi64EEEEEELb0EEES2S_EEENS5_IJST_SU_SV_SW_SX_EEENS5_IJS1I_SW_SX_NSS_IJLi5ELi6ELi7EEEENSS_IJLi8ELi9ELi10EEEEEEENSS_IJLi5ELi6ELi7ELi8ELi9ELi10EEEElEEEEES2Z_NS_31BlockToCTileMap_M00_N00_M01_N01ILi128ELi128ES1R_Lb0EEENS1_30ComputePtrOffsetOfStridedBatchILi1ELi1ELi1EvEELb1ELb0EEEvPKT0_S37_T1_PT2_T3_T4_T5_iT6_T7_T8_T9_T10_T11_,"axG",@progbits,_ZN2ck16tensor_operation6device12_GLOBAL__N_137kernel_grouped_conv_fwd_dl_multiple_dINS_32GridwiseGemmDlMultipleD_km_kn_mnILi256EDF16_fNS_5TupleIJDF16_EEEDF16_NS0_12element_wise11PassThroughES8_NS7_7AddReluELNS_25InMemoryDataOperationEnumE0ENS_16TensorDescriptorINS5_IJNS_5EmbedINS5_IJiiiEEESD_Lb0EEENS_11PassThroughIiEENS_3PadIiiiLb0EEESG_SG_NSC_INS5_IJiiEEESJ_Lb0EEESG_NS_23Merge_v2_magic_divisionISJ_EESM_NS_8RightPadIiiLb0EEESO_NS_7UnMergeISJ_Lb0EEESG_EEENS5_IJNS_8SequenceIJLi0EEEENSS_IJLi1EEEENSS_IJLi2EEEENSS_IJLi3EEEENSS_IJLi4EEEENSS_IJLi5EEEENSS_IJLi6EEEENSS_IJLi7ELi9EEEENSS_IJLi8ELi10EEEENSS_IJLi11EEEENSS_IJLi12EEEENSS_IJLi14EEEENSS_IJLi13EEEEEEENS5_IJNSS_IJLi1ELi2ELi3EEEESX_SY_SZ_NSS_IJLi7EEEENSS_IJLi8ELi9EEEENSS_IJLi10EEEES12_S13_S15_S14_NSS_IJLi15ELi16EEEENSS_IJLi17EEEEEEENSS_IJLi15ELi17ELi16EEEElEENSB_INS5_IJSQ_SO_SO_SQ_SG_EEENS5_IJST_SU_SV_SX_SW_EEENS5_IJNSS_IJLi1ELi2EEEESW_SX_NSS_IJLi5ELi6EEEES18_EEENSS_IJLi5ELi7ELi6EEEElEENSB_INS5_IJSK_SO_SO_EEENS5_IJST_SU_SV_EEENS5_IJS1I_SW_SX_EEENSS_IJLi3ELi4EEEElEELi128ELi128ELi16ELi2ELi4ELi4ELi1ENSS_IJLi8ELi2EEEES1S_NSS_IJLi8ELi1ELi1ELi2EEEENSS_IJLi2ELi1ELi128ELi1EEEENSS_IJLi1ELi2ELi0ELi3EEEES1V_NSS_IJLi4ELi1ELi1ELi2EEEES1V_NSS_IJLi1ELi1ELi1ELi2EEEES1T_S1U_S1V_S1V_S1W_S1V_S1X_NSS_IJLi0ELi1ELi2ELi3ELi4ELi5EEEELi5ELi4EEEDF16_NS5_IJPKDF16_EEEDF16_S8_S8_S9_NSB_INS5_IJSE_SG_SI_SG_SG_SK_SG_SM_SM_SO_SO_SQ_SG_SG_NSP_INS5_IJiNS_17integral_constantIiLi128EEEEEELb0EEENSF_INS23_IiLi2EEEEEEEENS5_IJST_SU_SV_SW_SX_SY_SZ_S10_S11_S12_S13_S14_S15_NSS_IJLi15EEEES1C_NSS_IJLi16EEEEEEENS5_IJS17_SX_SY_SZ_S18_S19_S1A_S12_S13_S15_S14_S1B_S1C_NSS_IJLi18EEEENSS_IJLi19ELi20EEEENSS_IJLi21EEEEEEENSS_IJLi18ELi19ELi20ELi21EEEElEENSB_INS5_IJSQ_SO_SO_SQ_SG_SG_S26_S28_EEENS5_IJST_SU_SV_SX_SW_SY_S18_SZ_EEENS5_IJS1I_SW_SX_S1J_S18_NSS_IJLi8EEEENSS_IJLi9ELi10EEEES12_EEENSS_IJLi8ELi9ELi10ELi11EEEElEENS5_IJNSB_INS5_IJSK_SO_SO_NSP_INS5_IJiS27_NS23_IiLi64EEEEEELb0EEES2S_EEENS5_IJST_SU_SV_SW_SX_EEENS5_IJS1I_SW_SX_NSS_IJLi5ELi6ELi7EEEENSS_IJLi8ELi9ELi10EEEEEEENSS_IJLi5ELi6ELi7ELi8ELi9ELi10EEEElEEEEES2Z_NS_31BlockToCTileMap_M00_N00_M01_N01ILi128ELi128ES1R_Lb0EEENS1_30ComputePtrOffsetOfStridedBatchILi1ELi1ELi1EvEELb1ELb0EEEvPKT0_S37_T1_PT2_T3_T4_T5_iT6_T7_T8_T9_T10_T11_,comdat
.Lfunc_end2:
	.size	_ZN2ck16tensor_operation6device12_GLOBAL__N_137kernel_grouped_conv_fwd_dl_multiple_dINS_32GridwiseGemmDlMultipleD_km_kn_mnILi256EDF16_fNS_5TupleIJDF16_EEEDF16_NS0_12element_wise11PassThroughES8_NS7_7AddReluELNS_25InMemoryDataOperationEnumE0ENS_16TensorDescriptorINS5_IJNS_5EmbedINS5_IJiiiEEESD_Lb0EEENS_11PassThroughIiEENS_3PadIiiiLb0EEESG_SG_NSC_INS5_IJiiEEESJ_Lb0EEESG_NS_23Merge_v2_magic_divisionISJ_EESM_NS_8RightPadIiiLb0EEESO_NS_7UnMergeISJ_Lb0EEESG_EEENS5_IJNS_8SequenceIJLi0EEEENSS_IJLi1EEEENSS_IJLi2EEEENSS_IJLi3EEEENSS_IJLi4EEEENSS_IJLi5EEEENSS_IJLi6EEEENSS_IJLi7ELi9EEEENSS_IJLi8ELi10EEEENSS_IJLi11EEEENSS_IJLi12EEEENSS_IJLi14EEEENSS_IJLi13EEEEEEENS5_IJNSS_IJLi1ELi2ELi3EEEESX_SY_SZ_NSS_IJLi7EEEENSS_IJLi8ELi9EEEENSS_IJLi10EEEES12_S13_S15_S14_NSS_IJLi15ELi16EEEENSS_IJLi17EEEEEEENSS_IJLi15ELi17ELi16EEEElEENSB_INS5_IJSQ_SO_SO_SQ_SG_EEENS5_IJST_SU_SV_SX_SW_EEENS5_IJNSS_IJLi1ELi2EEEESW_SX_NSS_IJLi5ELi6EEEES18_EEENSS_IJLi5ELi7ELi6EEEElEENSB_INS5_IJSK_SO_SO_EEENS5_IJST_SU_SV_EEENS5_IJS1I_SW_SX_EEENSS_IJLi3ELi4EEEElEELi128ELi128ELi16ELi2ELi4ELi4ELi1ENSS_IJLi8ELi2EEEES1S_NSS_IJLi8ELi1ELi1ELi2EEEENSS_IJLi2ELi1ELi128ELi1EEEENSS_IJLi1ELi2ELi0ELi3EEEES1V_NSS_IJLi4ELi1ELi1ELi2EEEES1V_NSS_IJLi1ELi1ELi1ELi2EEEES1T_S1U_S1V_S1V_S1W_S1V_S1X_NSS_IJLi0ELi1ELi2ELi3ELi4ELi5EEEELi5ELi4EEEDF16_NS5_IJPKDF16_EEEDF16_S8_S8_S9_NSB_INS5_IJSE_SG_SI_SG_SG_SK_SG_SM_SM_SO_SO_SQ_SG_SG_NSP_INS5_IJiNS_17integral_constantIiLi128EEEEEELb0EEENSF_INS23_IiLi2EEEEEEEENS5_IJST_SU_SV_SW_SX_SY_SZ_S10_S11_S12_S13_S14_S15_NSS_IJLi15EEEES1C_NSS_IJLi16EEEEEEENS5_IJS17_SX_SY_SZ_S18_S19_S1A_S12_S13_S15_S14_S1B_S1C_NSS_IJLi18EEEENSS_IJLi19ELi20EEEENSS_IJLi21EEEEEEENSS_IJLi18ELi19ELi20ELi21EEEElEENSB_INS5_IJSQ_SO_SO_SQ_SG_SG_S26_S28_EEENS5_IJST_SU_SV_SX_SW_SY_S18_SZ_EEENS5_IJS1I_SW_SX_S1J_S18_NSS_IJLi8EEEENSS_IJLi9ELi10EEEES12_EEENSS_IJLi8ELi9ELi10ELi11EEEElEENS5_IJNSB_INS5_IJSK_SO_SO_NSP_INS5_IJiS27_NS23_IiLi64EEEEEELb0EEES2S_EEENS5_IJST_SU_SV_SW_SX_EEENS5_IJS1I_SW_SX_NSS_IJLi5ELi6ELi7EEEENSS_IJLi8ELi9ELi10EEEEEEENSS_IJLi5ELi6ELi7ELi8ELi9ELi10EEEElEEEEES2Z_NS_31BlockToCTileMap_M00_N00_M01_N01ILi128ELi128ES1R_Lb0EEENS1_30ComputePtrOffsetOfStridedBatchILi1ELi1ELi1EvEELb1ELb0EEEvPKT0_S37_T1_PT2_T3_T4_T5_iT6_T7_T8_T9_T10_T11_, .Lfunc_end2-_ZN2ck16tensor_operation6device12_GLOBAL__N_137kernel_grouped_conv_fwd_dl_multiple_dINS_32GridwiseGemmDlMultipleD_km_kn_mnILi256EDF16_fNS_5TupleIJDF16_EEEDF16_NS0_12element_wise11PassThroughES8_NS7_7AddReluELNS_25InMemoryDataOperationEnumE0ENS_16TensorDescriptorINS5_IJNS_5EmbedINS5_IJiiiEEESD_Lb0EEENS_11PassThroughIiEENS_3PadIiiiLb0EEESG_SG_NSC_INS5_IJiiEEESJ_Lb0EEESG_NS_23Merge_v2_magic_divisionISJ_EESM_NS_8RightPadIiiLb0EEESO_NS_7UnMergeISJ_Lb0EEESG_EEENS5_IJNS_8SequenceIJLi0EEEENSS_IJLi1EEEENSS_IJLi2EEEENSS_IJLi3EEEENSS_IJLi4EEEENSS_IJLi5EEEENSS_IJLi6EEEENSS_IJLi7ELi9EEEENSS_IJLi8ELi10EEEENSS_IJLi11EEEENSS_IJLi12EEEENSS_IJLi14EEEENSS_IJLi13EEEEEEENS5_IJNSS_IJLi1ELi2ELi3EEEESX_SY_SZ_NSS_IJLi7EEEENSS_IJLi8ELi9EEEENSS_IJLi10EEEES12_S13_S15_S14_NSS_IJLi15ELi16EEEENSS_IJLi17EEEEEEENSS_IJLi15ELi17ELi16EEEElEENSB_INS5_IJSQ_SO_SO_SQ_SG_EEENS5_IJST_SU_SV_SX_SW_EEENS5_IJNSS_IJLi1ELi2EEEESW_SX_NSS_IJLi5ELi6EEEES18_EEENSS_IJLi5ELi7ELi6EEEElEENSB_INS5_IJSK_SO_SO_EEENS5_IJST_SU_SV_EEENS5_IJS1I_SW_SX_EEENSS_IJLi3ELi4EEEElEELi128ELi128ELi16ELi2ELi4ELi4ELi1ENSS_IJLi8ELi2EEEES1S_NSS_IJLi8ELi1ELi1ELi2EEEENSS_IJLi2ELi1ELi128ELi1EEEENSS_IJLi1ELi2ELi0ELi3EEEES1V_NSS_IJLi4ELi1ELi1ELi2EEEES1V_NSS_IJLi1ELi1ELi1ELi2EEEES1T_S1U_S1V_S1V_S1W_S1V_S1X_NSS_IJLi0ELi1ELi2ELi3ELi4ELi5EEEELi5ELi4EEEDF16_NS5_IJPKDF16_EEEDF16_S8_S8_S9_NSB_INS5_IJSE_SG_SI_SG_SG_SK_SG_SM_SM_SO_SO_SQ_SG_SG_NSP_INS5_IJiNS_17integral_constantIiLi128EEEEEELb0EEENSF_INS23_IiLi2EEEEEEEENS5_IJST_SU_SV_SW_SX_SY_SZ_S10_S11_S12_S13_S14_S15_NSS_IJLi15EEEES1C_NSS_IJLi16EEEEEEENS5_IJS17_SX_SY_SZ_S18_S19_S1A_S12_S13_S15_S14_S1B_S1C_NSS_IJLi18EEEENSS_IJLi19ELi20EEEENSS_IJLi21EEEEEEENSS_IJLi18ELi19ELi20ELi21EEEElEENSB_INS5_IJSQ_SO_SO_SQ_SG_SG_S26_S28_EEENS5_IJST_SU_SV_SX_SW_SY_S18_SZ_EEENS5_IJS1I_SW_SX_S1J_S18_NSS_IJLi8EEEENSS_IJLi9ELi10EEEES12_EEENSS_IJLi8ELi9ELi10ELi11EEEElEENS5_IJNSB_INS5_IJSK_SO_SO_NSP_INS5_IJiS27_NS23_IiLi64EEEEEELb0EEES2S_EEENS5_IJST_SU_SV_SW_SX_EEENS5_IJS1I_SW_SX_NSS_IJLi5ELi6ELi7EEEENSS_IJLi8ELi9ELi10EEEEEEENSS_IJLi5ELi6ELi7ELi8ELi9ELi10EEEElEEEEES2Z_NS_31BlockToCTileMap_M00_N00_M01_N01ILi128ELi128ES1R_Lb0EEENS1_30ComputePtrOffsetOfStridedBatchILi1ELi1ELi1EvEELb1ELb0EEEvPKT0_S37_T1_PT2_T3_T4_T5_iT6_T7_T8_T9_T10_T11_
                                        ; -- End function
	.section	.AMDGPU.csdata,"",@progbits
; Kernel info:
; codeLenInByte = 20764
; NumSgprs: 63
; NumVgprs: 128
; ScratchSize: 0
; MemoryBound: 0
; FloatMode: 240
; IeeeMode: 1
; LDSByteSize: 32768 bytes/workgroup (compile time only)
; SGPRBlocks: 7
; VGPRBlocks: 15
; NumSGPRsForWavesPerEU: 63
; NumVGPRsForWavesPerEU: 128
; Occupancy: 8
; WaveLimiterHint : 0
; COMPUTE_PGM_RSRC2:SCRATCH_EN: 0
; COMPUTE_PGM_RSRC2:USER_SGPR: 15
; COMPUTE_PGM_RSRC2:TRAP_HANDLER: 0
; COMPUTE_PGM_RSRC2:TGID_X_EN: 1
; COMPUTE_PGM_RSRC2:TGID_Y_EN: 0
; COMPUTE_PGM_RSRC2:TGID_Z_EN: 0
; COMPUTE_PGM_RSRC2:TIDIG_COMP_CNT: 0
	.section	.text._ZN2ck16tensor_operation6device12_GLOBAL__N_137kernel_grouped_conv_fwd_dl_multiple_dINS_32GridwiseGemmDlMultipleD_km_kn_mnILi256EDF16_fNS_5TupleIJDF16_EEEDF16_NS0_12element_wise11PassThroughES8_NS7_7AddReluELNS_25InMemoryDataOperationEnumE0ENS_16TensorDescriptorINS5_IJNS_5EmbedINS5_IJiiiEEESD_Lb0EEENS_11PassThroughIiEENS_3PadIiiiLb0EEESG_SG_NSC_INS5_IJiiEEESJ_Lb0EEESG_NS_23Merge_v2_magic_divisionISJ_EESM_NS_8RightPadIiiLb0EEESO_NS_7UnMergeISJ_Lb0EEESG_EEENS5_IJNS_8SequenceIJLi0EEEENSS_IJLi1EEEENSS_IJLi2EEEENSS_IJLi3EEEENSS_IJLi4EEEENSS_IJLi5EEEENSS_IJLi6EEEENSS_IJLi7ELi9EEEENSS_IJLi8ELi10EEEENSS_IJLi11EEEENSS_IJLi12EEEENSS_IJLi14EEEENSS_IJLi13EEEEEEENS5_IJNSS_IJLi1ELi2ELi3EEEESX_SY_SZ_NSS_IJLi7EEEENSS_IJLi8ELi9EEEENSS_IJLi10EEEES12_S13_S15_S14_NSS_IJLi15ELi16EEEENSS_IJLi17EEEEEEENSS_IJLi15ELi17ELi16EEEElEENSB_INS5_IJSQ_SO_SO_SQ_SG_EEENS5_IJST_SU_SV_SX_SW_EEENS5_IJNSS_IJLi1ELi2EEEESW_SX_NSS_IJLi5ELi6EEEES18_EEENSS_IJLi5ELi7ELi6EEEElEENSB_INS5_IJSK_SO_SO_EEENS5_IJST_SU_SV_EEENS5_IJS1I_SW_SX_EEENSS_IJLi3ELi4EEEElEELi128ELi128ELi16ELi2ELi4ELi4ELi1ENSS_IJLi8ELi2EEEES1S_NSS_IJLi8ELi1ELi1ELi2EEEENSS_IJLi2ELi1ELi128ELi1EEEENSS_IJLi1ELi2ELi0ELi3EEEES1V_NSS_IJLi4ELi1ELi1ELi2EEEES1V_NSS_IJLi1ELi1ELi1ELi2EEEES1T_S1U_S1V_S1V_S1W_S1V_S1X_NSS_IJLi0ELi1ELi2ELi3ELi4ELi5EEEELi5ELi4EEEDF16_NS5_IJPKDF16_EEEDF16_S8_S8_S9_NSB_INS5_IJSE_SG_SI_SG_SG_SK_SG_SM_SM_SO_SO_SQ_SG_SG_NSP_INS5_IJiNS_17integral_constantIiLi128EEEEEELb0EEENSF_INS23_IiLi2EEEEEEEENS5_IJST_SU_SV_SW_SX_SY_SZ_S10_S11_S12_S13_S14_S15_NSS_IJLi15EEEES1C_NSS_IJLi16EEEEEEENS5_IJS17_SX_SY_SZ_S18_S19_S1A_S12_S13_S15_S14_S1B_S1C_NSS_IJLi18EEEENSS_IJLi19ELi20EEEENSS_IJLi21EEEEEEENSS_IJLi18ELi19ELi20ELi21EEEElEENSB_INS5_IJSQ_SO_SO_SQ_SG_SG_S26_S28_EEENS5_IJST_SU_SV_SX_SW_SY_S18_SZ_EEENS5_IJS1I_SW_SX_S1J_S18_NSS_IJLi8EEEENSS_IJLi9ELi10EEEES12_EEENSS_IJLi8ELi9ELi10ELi11EEEElEENS5_IJNSB_INS5_IJSK_SO_SO_NSP_INS5_IJiS27_NS23_IiLi64EEEEEELb0EEES2S_EEENS5_IJST_SU_SV_SW_SX_EEENS5_IJS1I_SW_SX_NSS_IJLi5ELi6ELi7EEEENSS_IJLi8ELi9ELi10EEEEEEENSS_IJLi5ELi6ELi7ELi8ELi9ELi10EEEElEEEEES2Z_NS_31BlockToCTileMap_M00_N00_M01_N01ILi128ELi128ES1R_Lb0EEENS1_30ComputePtrOffsetOfStridedBatchILi1ELi1ELi1EvEELb0ELb1EEEvPKT0_S37_T1_PT2_T3_T4_T5_iT6_T7_T8_T9_T10_T11_,"axG",@progbits,_ZN2ck16tensor_operation6device12_GLOBAL__N_137kernel_grouped_conv_fwd_dl_multiple_dINS_32GridwiseGemmDlMultipleD_km_kn_mnILi256EDF16_fNS_5TupleIJDF16_EEEDF16_NS0_12element_wise11PassThroughES8_NS7_7AddReluELNS_25InMemoryDataOperationEnumE0ENS_16TensorDescriptorINS5_IJNS_5EmbedINS5_IJiiiEEESD_Lb0EEENS_11PassThroughIiEENS_3PadIiiiLb0EEESG_SG_NSC_INS5_IJiiEEESJ_Lb0EEESG_NS_23Merge_v2_magic_divisionISJ_EESM_NS_8RightPadIiiLb0EEESO_NS_7UnMergeISJ_Lb0EEESG_EEENS5_IJNS_8SequenceIJLi0EEEENSS_IJLi1EEEENSS_IJLi2EEEENSS_IJLi3EEEENSS_IJLi4EEEENSS_IJLi5EEEENSS_IJLi6EEEENSS_IJLi7ELi9EEEENSS_IJLi8ELi10EEEENSS_IJLi11EEEENSS_IJLi12EEEENSS_IJLi14EEEENSS_IJLi13EEEEEEENS5_IJNSS_IJLi1ELi2ELi3EEEESX_SY_SZ_NSS_IJLi7EEEENSS_IJLi8ELi9EEEENSS_IJLi10EEEES12_S13_S15_S14_NSS_IJLi15ELi16EEEENSS_IJLi17EEEEEEENSS_IJLi15ELi17ELi16EEEElEENSB_INS5_IJSQ_SO_SO_SQ_SG_EEENS5_IJST_SU_SV_SX_SW_EEENS5_IJNSS_IJLi1ELi2EEEESW_SX_NSS_IJLi5ELi6EEEES18_EEENSS_IJLi5ELi7ELi6EEEElEENSB_INS5_IJSK_SO_SO_EEENS5_IJST_SU_SV_EEENS5_IJS1I_SW_SX_EEENSS_IJLi3ELi4EEEElEELi128ELi128ELi16ELi2ELi4ELi4ELi1ENSS_IJLi8ELi2EEEES1S_NSS_IJLi8ELi1ELi1ELi2EEEENSS_IJLi2ELi1ELi128ELi1EEEENSS_IJLi1ELi2ELi0ELi3EEEES1V_NSS_IJLi4ELi1ELi1ELi2EEEES1V_NSS_IJLi1ELi1ELi1ELi2EEEES1T_S1U_S1V_S1V_S1W_S1V_S1X_NSS_IJLi0ELi1ELi2ELi3ELi4ELi5EEEELi5ELi4EEEDF16_NS5_IJPKDF16_EEEDF16_S8_S8_S9_NSB_INS5_IJSE_SG_SI_SG_SG_SK_SG_SM_SM_SO_SO_SQ_SG_SG_NSP_INS5_IJiNS_17integral_constantIiLi128EEEEEELb0EEENSF_INS23_IiLi2EEEEEEEENS5_IJST_SU_SV_SW_SX_SY_SZ_S10_S11_S12_S13_S14_S15_NSS_IJLi15EEEES1C_NSS_IJLi16EEEEEEENS5_IJS17_SX_SY_SZ_S18_S19_S1A_S12_S13_S15_S14_S1B_S1C_NSS_IJLi18EEEENSS_IJLi19ELi20EEEENSS_IJLi21EEEEEEENSS_IJLi18ELi19ELi20ELi21EEEElEENSB_INS5_IJSQ_SO_SO_SQ_SG_SG_S26_S28_EEENS5_IJST_SU_SV_SX_SW_SY_S18_SZ_EEENS5_IJS1I_SW_SX_S1J_S18_NSS_IJLi8EEEENSS_IJLi9ELi10EEEES12_EEENSS_IJLi8ELi9ELi10ELi11EEEElEENS5_IJNSB_INS5_IJSK_SO_SO_NSP_INS5_IJiS27_NS23_IiLi64EEEEEELb0EEES2S_EEENS5_IJST_SU_SV_SW_SX_EEENS5_IJS1I_SW_SX_NSS_IJLi5ELi6ELi7EEEENSS_IJLi8ELi9ELi10EEEEEEENSS_IJLi5ELi6ELi7ELi8ELi9ELi10EEEElEEEEES2Z_NS_31BlockToCTileMap_M00_N00_M01_N01ILi128ELi128ES1R_Lb0EEENS1_30ComputePtrOffsetOfStridedBatchILi1ELi1ELi1EvEELb0ELb1EEEvPKT0_S37_T1_PT2_T3_T4_T5_iT6_T7_T8_T9_T10_T11_,comdat
	.globl	_ZN2ck16tensor_operation6device12_GLOBAL__N_137kernel_grouped_conv_fwd_dl_multiple_dINS_32GridwiseGemmDlMultipleD_km_kn_mnILi256EDF16_fNS_5TupleIJDF16_EEEDF16_NS0_12element_wise11PassThroughES8_NS7_7AddReluELNS_25InMemoryDataOperationEnumE0ENS_16TensorDescriptorINS5_IJNS_5EmbedINS5_IJiiiEEESD_Lb0EEENS_11PassThroughIiEENS_3PadIiiiLb0EEESG_SG_NSC_INS5_IJiiEEESJ_Lb0EEESG_NS_23Merge_v2_magic_divisionISJ_EESM_NS_8RightPadIiiLb0EEESO_NS_7UnMergeISJ_Lb0EEESG_EEENS5_IJNS_8SequenceIJLi0EEEENSS_IJLi1EEEENSS_IJLi2EEEENSS_IJLi3EEEENSS_IJLi4EEEENSS_IJLi5EEEENSS_IJLi6EEEENSS_IJLi7ELi9EEEENSS_IJLi8ELi10EEEENSS_IJLi11EEEENSS_IJLi12EEEENSS_IJLi14EEEENSS_IJLi13EEEEEEENS5_IJNSS_IJLi1ELi2ELi3EEEESX_SY_SZ_NSS_IJLi7EEEENSS_IJLi8ELi9EEEENSS_IJLi10EEEES12_S13_S15_S14_NSS_IJLi15ELi16EEEENSS_IJLi17EEEEEEENSS_IJLi15ELi17ELi16EEEElEENSB_INS5_IJSQ_SO_SO_SQ_SG_EEENS5_IJST_SU_SV_SX_SW_EEENS5_IJNSS_IJLi1ELi2EEEESW_SX_NSS_IJLi5ELi6EEEES18_EEENSS_IJLi5ELi7ELi6EEEElEENSB_INS5_IJSK_SO_SO_EEENS5_IJST_SU_SV_EEENS5_IJS1I_SW_SX_EEENSS_IJLi3ELi4EEEElEELi128ELi128ELi16ELi2ELi4ELi4ELi1ENSS_IJLi8ELi2EEEES1S_NSS_IJLi8ELi1ELi1ELi2EEEENSS_IJLi2ELi1ELi128ELi1EEEENSS_IJLi1ELi2ELi0ELi3EEEES1V_NSS_IJLi4ELi1ELi1ELi2EEEES1V_NSS_IJLi1ELi1ELi1ELi2EEEES1T_S1U_S1V_S1V_S1W_S1V_S1X_NSS_IJLi0ELi1ELi2ELi3ELi4ELi5EEEELi5ELi4EEEDF16_NS5_IJPKDF16_EEEDF16_S8_S8_S9_NSB_INS5_IJSE_SG_SI_SG_SG_SK_SG_SM_SM_SO_SO_SQ_SG_SG_NSP_INS5_IJiNS_17integral_constantIiLi128EEEEEELb0EEENSF_INS23_IiLi2EEEEEEEENS5_IJST_SU_SV_SW_SX_SY_SZ_S10_S11_S12_S13_S14_S15_NSS_IJLi15EEEES1C_NSS_IJLi16EEEEEEENS5_IJS17_SX_SY_SZ_S18_S19_S1A_S12_S13_S15_S14_S1B_S1C_NSS_IJLi18EEEENSS_IJLi19ELi20EEEENSS_IJLi21EEEEEEENSS_IJLi18ELi19ELi20ELi21EEEElEENSB_INS5_IJSQ_SO_SO_SQ_SG_SG_S26_S28_EEENS5_IJST_SU_SV_SX_SW_SY_S18_SZ_EEENS5_IJS1I_SW_SX_S1J_S18_NSS_IJLi8EEEENSS_IJLi9ELi10EEEES12_EEENSS_IJLi8ELi9ELi10ELi11EEEElEENS5_IJNSB_INS5_IJSK_SO_SO_NSP_INS5_IJiS27_NS23_IiLi64EEEEEELb0EEES2S_EEENS5_IJST_SU_SV_SW_SX_EEENS5_IJS1I_SW_SX_NSS_IJLi5ELi6ELi7EEEENSS_IJLi8ELi9ELi10EEEEEEENSS_IJLi5ELi6ELi7ELi8ELi9ELi10EEEElEEEEES2Z_NS_31BlockToCTileMap_M00_N00_M01_N01ILi128ELi128ES1R_Lb0EEENS1_30ComputePtrOffsetOfStridedBatchILi1ELi1ELi1EvEELb0ELb1EEEvPKT0_S37_T1_PT2_T3_T4_T5_iT6_T7_T8_T9_T10_T11_ ; -- Begin function _ZN2ck16tensor_operation6device12_GLOBAL__N_137kernel_grouped_conv_fwd_dl_multiple_dINS_32GridwiseGemmDlMultipleD_km_kn_mnILi256EDF16_fNS_5TupleIJDF16_EEEDF16_NS0_12element_wise11PassThroughES8_NS7_7AddReluELNS_25InMemoryDataOperationEnumE0ENS_16TensorDescriptorINS5_IJNS_5EmbedINS5_IJiiiEEESD_Lb0EEENS_11PassThroughIiEENS_3PadIiiiLb0EEESG_SG_NSC_INS5_IJiiEEESJ_Lb0EEESG_NS_23Merge_v2_magic_divisionISJ_EESM_NS_8RightPadIiiLb0EEESO_NS_7UnMergeISJ_Lb0EEESG_EEENS5_IJNS_8SequenceIJLi0EEEENSS_IJLi1EEEENSS_IJLi2EEEENSS_IJLi3EEEENSS_IJLi4EEEENSS_IJLi5EEEENSS_IJLi6EEEENSS_IJLi7ELi9EEEENSS_IJLi8ELi10EEEENSS_IJLi11EEEENSS_IJLi12EEEENSS_IJLi14EEEENSS_IJLi13EEEEEEENS5_IJNSS_IJLi1ELi2ELi3EEEESX_SY_SZ_NSS_IJLi7EEEENSS_IJLi8ELi9EEEENSS_IJLi10EEEES12_S13_S15_S14_NSS_IJLi15ELi16EEEENSS_IJLi17EEEEEEENSS_IJLi15ELi17ELi16EEEElEENSB_INS5_IJSQ_SO_SO_SQ_SG_EEENS5_IJST_SU_SV_SX_SW_EEENS5_IJNSS_IJLi1ELi2EEEESW_SX_NSS_IJLi5ELi6EEEES18_EEENSS_IJLi5ELi7ELi6EEEElEENSB_INS5_IJSK_SO_SO_EEENS5_IJST_SU_SV_EEENS5_IJS1I_SW_SX_EEENSS_IJLi3ELi4EEEElEELi128ELi128ELi16ELi2ELi4ELi4ELi1ENSS_IJLi8ELi2EEEES1S_NSS_IJLi8ELi1ELi1ELi2EEEENSS_IJLi2ELi1ELi128ELi1EEEENSS_IJLi1ELi2ELi0ELi3EEEES1V_NSS_IJLi4ELi1ELi1ELi2EEEES1V_NSS_IJLi1ELi1ELi1ELi2EEEES1T_S1U_S1V_S1V_S1W_S1V_S1X_NSS_IJLi0ELi1ELi2ELi3ELi4ELi5EEEELi5ELi4EEEDF16_NS5_IJPKDF16_EEEDF16_S8_S8_S9_NSB_INS5_IJSE_SG_SI_SG_SG_SK_SG_SM_SM_SO_SO_SQ_SG_SG_NSP_INS5_IJiNS_17integral_constantIiLi128EEEEEELb0EEENSF_INS23_IiLi2EEEEEEEENS5_IJST_SU_SV_SW_SX_SY_SZ_S10_S11_S12_S13_S14_S15_NSS_IJLi15EEEES1C_NSS_IJLi16EEEEEEENS5_IJS17_SX_SY_SZ_S18_S19_S1A_S12_S13_S15_S14_S1B_S1C_NSS_IJLi18EEEENSS_IJLi19ELi20EEEENSS_IJLi21EEEEEEENSS_IJLi18ELi19ELi20ELi21EEEElEENSB_INS5_IJSQ_SO_SO_SQ_SG_SG_S26_S28_EEENS5_IJST_SU_SV_SX_SW_SY_S18_SZ_EEENS5_IJS1I_SW_SX_S1J_S18_NSS_IJLi8EEEENSS_IJLi9ELi10EEEES12_EEENSS_IJLi8ELi9ELi10ELi11EEEElEENS5_IJNSB_INS5_IJSK_SO_SO_NSP_INS5_IJiS27_NS23_IiLi64EEEEEELb0EEES2S_EEENS5_IJST_SU_SV_SW_SX_EEENS5_IJS1I_SW_SX_NSS_IJLi5ELi6ELi7EEEENSS_IJLi8ELi9ELi10EEEEEEENSS_IJLi5ELi6ELi7ELi8ELi9ELi10EEEElEEEEES2Z_NS_31BlockToCTileMap_M00_N00_M01_N01ILi128ELi128ES1R_Lb0EEENS1_30ComputePtrOffsetOfStridedBatchILi1ELi1ELi1EvEELb0ELb1EEEvPKT0_S37_T1_PT2_T3_T4_T5_iT6_T7_T8_T9_T10_T11_
	.p2align	8
	.type	_ZN2ck16tensor_operation6device12_GLOBAL__N_137kernel_grouped_conv_fwd_dl_multiple_dINS_32GridwiseGemmDlMultipleD_km_kn_mnILi256EDF16_fNS_5TupleIJDF16_EEEDF16_NS0_12element_wise11PassThroughES8_NS7_7AddReluELNS_25InMemoryDataOperationEnumE0ENS_16TensorDescriptorINS5_IJNS_5EmbedINS5_IJiiiEEESD_Lb0EEENS_11PassThroughIiEENS_3PadIiiiLb0EEESG_SG_NSC_INS5_IJiiEEESJ_Lb0EEESG_NS_23Merge_v2_magic_divisionISJ_EESM_NS_8RightPadIiiLb0EEESO_NS_7UnMergeISJ_Lb0EEESG_EEENS5_IJNS_8SequenceIJLi0EEEENSS_IJLi1EEEENSS_IJLi2EEEENSS_IJLi3EEEENSS_IJLi4EEEENSS_IJLi5EEEENSS_IJLi6EEEENSS_IJLi7ELi9EEEENSS_IJLi8ELi10EEEENSS_IJLi11EEEENSS_IJLi12EEEENSS_IJLi14EEEENSS_IJLi13EEEEEEENS5_IJNSS_IJLi1ELi2ELi3EEEESX_SY_SZ_NSS_IJLi7EEEENSS_IJLi8ELi9EEEENSS_IJLi10EEEES12_S13_S15_S14_NSS_IJLi15ELi16EEEENSS_IJLi17EEEEEEENSS_IJLi15ELi17ELi16EEEElEENSB_INS5_IJSQ_SO_SO_SQ_SG_EEENS5_IJST_SU_SV_SX_SW_EEENS5_IJNSS_IJLi1ELi2EEEESW_SX_NSS_IJLi5ELi6EEEES18_EEENSS_IJLi5ELi7ELi6EEEElEENSB_INS5_IJSK_SO_SO_EEENS5_IJST_SU_SV_EEENS5_IJS1I_SW_SX_EEENSS_IJLi3ELi4EEEElEELi128ELi128ELi16ELi2ELi4ELi4ELi1ENSS_IJLi8ELi2EEEES1S_NSS_IJLi8ELi1ELi1ELi2EEEENSS_IJLi2ELi1ELi128ELi1EEEENSS_IJLi1ELi2ELi0ELi3EEEES1V_NSS_IJLi4ELi1ELi1ELi2EEEES1V_NSS_IJLi1ELi1ELi1ELi2EEEES1T_S1U_S1V_S1V_S1W_S1V_S1X_NSS_IJLi0ELi1ELi2ELi3ELi4ELi5EEEELi5ELi4EEEDF16_NS5_IJPKDF16_EEEDF16_S8_S8_S9_NSB_INS5_IJSE_SG_SI_SG_SG_SK_SG_SM_SM_SO_SO_SQ_SG_SG_NSP_INS5_IJiNS_17integral_constantIiLi128EEEEEELb0EEENSF_INS23_IiLi2EEEEEEEENS5_IJST_SU_SV_SW_SX_SY_SZ_S10_S11_S12_S13_S14_S15_NSS_IJLi15EEEES1C_NSS_IJLi16EEEEEEENS5_IJS17_SX_SY_SZ_S18_S19_S1A_S12_S13_S15_S14_S1B_S1C_NSS_IJLi18EEEENSS_IJLi19ELi20EEEENSS_IJLi21EEEEEEENSS_IJLi18ELi19ELi20ELi21EEEElEENSB_INS5_IJSQ_SO_SO_SQ_SG_SG_S26_S28_EEENS5_IJST_SU_SV_SX_SW_SY_S18_SZ_EEENS5_IJS1I_SW_SX_S1J_S18_NSS_IJLi8EEEENSS_IJLi9ELi10EEEES12_EEENSS_IJLi8ELi9ELi10ELi11EEEElEENS5_IJNSB_INS5_IJSK_SO_SO_NSP_INS5_IJiS27_NS23_IiLi64EEEEEELb0EEES2S_EEENS5_IJST_SU_SV_SW_SX_EEENS5_IJS1I_SW_SX_NSS_IJLi5ELi6ELi7EEEENSS_IJLi8ELi9ELi10EEEEEEENSS_IJLi5ELi6ELi7ELi8ELi9ELi10EEEElEEEEES2Z_NS_31BlockToCTileMap_M00_N00_M01_N01ILi128ELi128ES1R_Lb0EEENS1_30ComputePtrOffsetOfStridedBatchILi1ELi1ELi1EvEELb0ELb1EEEvPKT0_S37_T1_PT2_T3_T4_T5_iT6_T7_T8_T9_T10_T11_,@function
_ZN2ck16tensor_operation6device12_GLOBAL__N_137kernel_grouped_conv_fwd_dl_multiple_dINS_32GridwiseGemmDlMultipleD_km_kn_mnILi256EDF16_fNS_5TupleIJDF16_EEEDF16_NS0_12element_wise11PassThroughES8_NS7_7AddReluELNS_25InMemoryDataOperationEnumE0ENS_16TensorDescriptorINS5_IJNS_5EmbedINS5_IJiiiEEESD_Lb0EEENS_11PassThroughIiEENS_3PadIiiiLb0EEESG_SG_NSC_INS5_IJiiEEESJ_Lb0EEESG_NS_23Merge_v2_magic_divisionISJ_EESM_NS_8RightPadIiiLb0EEESO_NS_7UnMergeISJ_Lb0EEESG_EEENS5_IJNS_8SequenceIJLi0EEEENSS_IJLi1EEEENSS_IJLi2EEEENSS_IJLi3EEEENSS_IJLi4EEEENSS_IJLi5EEEENSS_IJLi6EEEENSS_IJLi7ELi9EEEENSS_IJLi8ELi10EEEENSS_IJLi11EEEENSS_IJLi12EEEENSS_IJLi14EEEENSS_IJLi13EEEEEEENS5_IJNSS_IJLi1ELi2ELi3EEEESX_SY_SZ_NSS_IJLi7EEEENSS_IJLi8ELi9EEEENSS_IJLi10EEEES12_S13_S15_S14_NSS_IJLi15ELi16EEEENSS_IJLi17EEEEEEENSS_IJLi15ELi17ELi16EEEElEENSB_INS5_IJSQ_SO_SO_SQ_SG_EEENS5_IJST_SU_SV_SX_SW_EEENS5_IJNSS_IJLi1ELi2EEEESW_SX_NSS_IJLi5ELi6EEEES18_EEENSS_IJLi5ELi7ELi6EEEElEENSB_INS5_IJSK_SO_SO_EEENS5_IJST_SU_SV_EEENS5_IJS1I_SW_SX_EEENSS_IJLi3ELi4EEEElEELi128ELi128ELi16ELi2ELi4ELi4ELi1ENSS_IJLi8ELi2EEEES1S_NSS_IJLi8ELi1ELi1ELi2EEEENSS_IJLi2ELi1ELi128ELi1EEEENSS_IJLi1ELi2ELi0ELi3EEEES1V_NSS_IJLi4ELi1ELi1ELi2EEEES1V_NSS_IJLi1ELi1ELi1ELi2EEEES1T_S1U_S1V_S1V_S1W_S1V_S1X_NSS_IJLi0ELi1ELi2ELi3ELi4ELi5EEEELi5ELi4EEEDF16_NS5_IJPKDF16_EEEDF16_S8_S8_S9_NSB_INS5_IJSE_SG_SI_SG_SG_SK_SG_SM_SM_SO_SO_SQ_SG_SG_NSP_INS5_IJiNS_17integral_constantIiLi128EEEEEELb0EEENSF_INS23_IiLi2EEEEEEEENS5_IJST_SU_SV_SW_SX_SY_SZ_S10_S11_S12_S13_S14_S15_NSS_IJLi15EEEES1C_NSS_IJLi16EEEEEEENS5_IJS17_SX_SY_SZ_S18_S19_S1A_S12_S13_S15_S14_S1B_S1C_NSS_IJLi18EEEENSS_IJLi19ELi20EEEENSS_IJLi21EEEEEEENSS_IJLi18ELi19ELi20ELi21EEEElEENSB_INS5_IJSQ_SO_SO_SQ_SG_SG_S26_S28_EEENS5_IJST_SU_SV_SX_SW_SY_S18_SZ_EEENS5_IJS1I_SW_SX_S1J_S18_NSS_IJLi8EEEENSS_IJLi9ELi10EEEES12_EEENSS_IJLi8ELi9ELi10ELi11EEEElEENS5_IJNSB_INS5_IJSK_SO_SO_NSP_INS5_IJiS27_NS23_IiLi64EEEEEELb0EEES2S_EEENS5_IJST_SU_SV_SW_SX_EEENS5_IJS1I_SW_SX_NSS_IJLi5ELi6ELi7EEEENSS_IJLi8ELi9ELi10EEEEEEENSS_IJLi5ELi6ELi7ELi8ELi9ELi10EEEElEEEEES2Z_NS_31BlockToCTileMap_M00_N00_M01_N01ILi128ELi128ES1R_Lb0EEENS1_30ComputePtrOffsetOfStridedBatchILi1ELi1ELi1EvEELb0ELb1EEEvPKT0_S37_T1_PT2_T3_T4_T5_iT6_T7_T8_T9_T10_T11_: ; @_ZN2ck16tensor_operation6device12_GLOBAL__N_137kernel_grouped_conv_fwd_dl_multiple_dINS_32GridwiseGemmDlMultipleD_km_kn_mnILi256EDF16_fNS_5TupleIJDF16_EEEDF16_NS0_12element_wise11PassThroughES8_NS7_7AddReluELNS_25InMemoryDataOperationEnumE0ENS_16TensorDescriptorINS5_IJNS_5EmbedINS5_IJiiiEEESD_Lb0EEENS_11PassThroughIiEENS_3PadIiiiLb0EEESG_SG_NSC_INS5_IJiiEEESJ_Lb0EEESG_NS_23Merge_v2_magic_divisionISJ_EESM_NS_8RightPadIiiLb0EEESO_NS_7UnMergeISJ_Lb0EEESG_EEENS5_IJNS_8SequenceIJLi0EEEENSS_IJLi1EEEENSS_IJLi2EEEENSS_IJLi3EEEENSS_IJLi4EEEENSS_IJLi5EEEENSS_IJLi6EEEENSS_IJLi7ELi9EEEENSS_IJLi8ELi10EEEENSS_IJLi11EEEENSS_IJLi12EEEENSS_IJLi14EEEENSS_IJLi13EEEEEEENS5_IJNSS_IJLi1ELi2ELi3EEEESX_SY_SZ_NSS_IJLi7EEEENSS_IJLi8ELi9EEEENSS_IJLi10EEEES12_S13_S15_S14_NSS_IJLi15ELi16EEEENSS_IJLi17EEEEEEENSS_IJLi15ELi17ELi16EEEElEENSB_INS5_IJSQ_SO_SO_SQ_SG_EEENS5_IJST_SU_SV_SX_SW_EEENS5_IJNSS_IJLi1ELi2EEEESW_SX_NSS_IJLi5ELi6EEEES18_EEENSS_IJLi5ELi7ELi6EEEElEENSB_INS5_IJSK_SO_SO_EEENS5_IJST_SU_SV_EEENS5_IJS1I_SW_SX_EEENSS_IJLi3ELi4EEEElEELi128ELi128ELi16ELi2ELi4ELi4ELi1ENSS_IJLi8ELi2EEEES1S_NSS_IJLi8ELi1ELi1ELi2EEEENSS_IJLi2ELi1ELi128ELi1EEEENSS_IJLi1ELi2ELi0ELi3EEEES1V_NSS_IJLi4ELi1ELi1ELi2EEEES1V_NSS_IJLi1ELi1ELi1ELi2EEEES1T_S1U_S1V_S1V_S1W_S1V_S1X_NSS_IJLi0ELi1ELi2ELi3ELi4ELi5EEEELi5ELi4EEEDF16_NS5_IJPKDF16_EEEDF16_S8_S8_S9_NSB_INS5_IJSE_SG_SI_SG_SG_SK_SG_SM_SM_SO_SO_SQ_SG_SG_NSP_INS5_IJiNS_17integral_constantIiLi128EEEEEELb0EEENSF_INS23_IiLi2EEEEEEEENS5_IJST_SU_SV_SW_SX_SY_SZ_S10_S11_S12_S13_S14_S15_NSS_IJLi15EEEES1C_NSS_IJLi16EEEEEEENS5_IJS17_SX_SY_SZ_S18_S19_S1A_S12_S13_S15_S14_S1B_S1C_NSS_IJLi18EEEENSS_IJLi19ELi20EEEENSS_IJLi21EEEEEEENSS_IJLi18ELi19ELi20ELi21EEEElEENSB_INS5_IJSQ_SO_SO_SQ_SG_SG_S26_S28_EEENS5_IJST_SU_SV_SX_SW_SY_S18_SZ_EEENS5_IJS1I_SW_SX_S1J_S18_NSS_IJLi8EEEENSS_IJLi9ELi10EEEES12_EEENSS_IJLi8ELi9ELi10ELi11EEEElEENS5_IJNSB_INS5_IJSK_SO_SO_NSP_INS5_IJiS27_NS23_IiLi64EEEEEELb0EEES2S_EEENS5_IJST_SU_SV_SW_SX_EEENS5_IJS1I_SW_SX_NSS_IJLi5ELi6ELi7EEEENSS_IJLi8ELi9ELi10EEEEEEENSS_IJLi5ELi6ELi7ELi8ELi9ELi10EEEElEEEEES2Z_NS_31BlockToCTileMap_M00_N00_M01_N01ILi128ELi128ES1R_Lb0EEENS1_30ComputePtrOffsetOfStridedBatchILi1ELi1ELi1EvEELb0ELb1EEEvPKT0_S37_T1_PT2_T3_T4_T5_iT6_T7_T8_T9_T10_T11_
; %bb.0:
	s_clause 0x8
	s_load_b32 s2, s[0:1], 0x24
	s_load_b32 s31, s[0:1], 0x80
	;; [unrolled: 1-line block ×5, first 2 shown]
	s_load_b128 s[48:51], s[0:1], 0x234
	s_load_b128 s[40:43], s[0:1], 0x220
	s_load_b128 s[44:47], s[0:1], 0x248
	s_load_b32 s35, s[0:1], 0xf8
	v_lshrrev_b32_e32 v83, 1, v0
	v_mov_b32_e32 v53, 0
	v_lshrrev_b32_e32 v85, 5, v0
	v_dual_mov_b32 v43, 0 :: v_dual_mov_b32 v38, 0
	v_dual_mov_b32 v41, 0 :: v_dual_mov_b32 v80, 0
	;; [unrolled: 1-line block ×4, first 2 shown]
	s_waitcnt lgkmcnt(0)
	s_abs_i32 s3, s2
	v_dual_mov_b32 v59, 0 :: v_dual_mov_b32 v78, 0
	v_cvt_f32_u32_e32 v1, s3
	s_sub_i32 s6, 0, s3
	s_abs_i32 s7, s4
	s_xor_b32 s2, s4, s2
	v_dual_mov_b32 v31, 0 :: v_dual_mov_b32 v44, 0
	v_rcp_iflag_f32_e32 v1, v1
	s_ashr_i32 s2, s2, 31
	v_dual_mov_b32 v81, 0 :: v_dual_mov_b32 v40, 0
	v_dual_mov_b32 v47, 0 :: v_dual_mov_b32 v36, 0
	;; [unrolled: 1-line block ×3, first 2 shown]
	v_mov_b32_e32 v45, 0
	v_dual_mov_b32 v75, 0 :: v_dual_mov_b32 v60, 0
	s_waitcnt_depctr 0xfff
	v_mul_f32_e32 v1, 0x4f7ffffe, v1
	v_dual_mov_b32 v73, 0 :: v_dual_mov_b32 v56, 0
	v_dual_mov_b32 v39, 0 :: v_dual_mov_b32 v52, 0
	s_delay_alu instid0(VALU_DEP_3) | instskip(SKIP_2) | instid1(VALU_DEP_3)
	v_cvt_u32_f32_e32 v1, v1
	v_dual_mov_b32 v69, 0 :: v_dual_mov_b32 v54, 0
	v_dual_mov_b32 v67, 0 :: v_dual_mov_b32 v28, 0
	v_readfirstlane_b32 s5, v1
	v_dual_mov_b32 v37, 0 :: v_dual_mov_b32 v50, 0
	v_dual_mov_b32 v63, 0 :: v_dual_mov_b32 v34, 0
	s_delay_alu instid0(VALU_DEP_3)
	s_mul_i32 s6, s6, s5
	v_dual_mov_b32 v19, 0 :: v_dual_mov_b32 v74, 0
	s_mul_hi_u32 s6, s5, s6
	v_dual_mov_b32 v23, 0 :: v_dual_mov_b32 v72, 0
	s_add_i32 s5, s5, s6
	v_dual_mov_b32 v25, 0 :: v_dual_mov_b32 v20, 0
	s_mul_hi_u32 s5, s7, s5
	v_dual_mov_b32 v27, 0 :: v_dual_mov_b32 v68, 0
	s_mul_i32 s4, s5, s3
	s_add_i32 s6, s5, 1
	s_sub_i32 s4, s7, s4
	v_dual_mov_b32 v51, 0 :: v_dual_mov_b32 v66, 0
	s_sub_i32 s7, s4, s3
	s_cmp_ge_u32 s4, s3
	v_dual_mov_b32 v35, 0 :: v_dual_mov_b32 v22, 0
	s_cselect_b32 s5, s6, s5
	s_cselect_b32 s4, s7, s4
	s_add_i32 s6, s5, 1
	s_cmp_ge_u32 s4, s3
	v_dual_mov_b32 v21, 0 :: v_dual_mov_b32 v24, 0
	s_cselect_b32 s3, s6, s5
	s_abs_i32 s12, s15
	s_xor_b32 s3, s3, s2
	v_dual_mov_b32 v61, 0 :: v_dual_mov_b32 v58, 0
	s_sub_i32 s2, s3, s2
	v_dual_mov_b32 v29, 0 :: v_dual_mov_b32 v30, 0
	s_abs_i32 s3, s2
	s_xor_b32 s2, s15, s2
	v_cvt_f32_u32_e32 v1, s3
	s_sub_i32 s5, 0, s3
	s_ashr_i32 s2, s2, 31
	v_dual_mov_b32 v26, 0 :: v_dual_mov_b32 v77, 0
	s_delay_alu instid0(VALU_DEP_2)
	v_rcp_iflag_f32_e32 v1, v1
	v_dual_mov_b32 v49, 0 :: v_dual_mov_b32 v76, 0
	v_dual_mov_b32 v48, 0 :: v_dual_lshlrev_b32 v99, 6, v85
	v_mov_b32_e32 v70, 0
	v_mov_b32_e32 v42, 0
	v_dual_mov_b32 v64, 0 :: v_dual_mov_b32 v71, 0
	s_waitcnt_depctr 0xfff
	v_mul_f32_e32 v1, 0x4f7ffffe, v1
	s_delay_alu instid0(VALU_DEP_1) | instskip(NEXT) | instid1(VALU_DEP_1)
	v_cvt_u32_f32_e32 v1, v1
	v_readfirstlane_b32 s4, v1
	v_lshlrev_b32_e32 v1, 3, v0
	s_delay_alu instid0(VALU_DEP_2) | instskip(NEXT) | instid1(VALU_DEP_1)
	s_mul_i32 s5, s5, s4
	v_and_b32_e32 v82, 8, v1
	s_mul_hi_u32 s5, s4, s5
	s_delay_alu instid0(SALU_CYCLE_1) | instskip(SKIP_4) | instid1(SALU_CYCLE_1)
	s_add_i32 s13, s4, s5
	s_load_b256 s[4:11], s[0:1], 0x260
	s_mul_hi_u32 s13, s12, s13
	v_or_b32_e32 v84, 16, v82
	s_mul_i32 s14, s13, s3
	s_sub_i32 s12, s12, s14
	s_add_i32 s14, s13, 1
	s_sub_i32 s16, s12, s3
	s_cmp_ge_u32 s12, s3
	s_cselect_b32 s13, s14, s13
	s_cselect_b32 s12, s16, s12
	s_load_b256 s[16:23], s[0:1], 0x0
	s_add_i32 s14, s13, 1
	s_cmp_ge_u32 s12, s3
	s_cselect_b32 s3, s14, s13
	s_delay_alu instid0(SALU_CYCLE_1) | instskip(NEXT) | instid1(SALU_CYCLE_1)
	s_xor_b32 s3, s3, s2
	s_sub_i32 s14, s3, s2
	s_delay_alu instid0(SALU_CYCLE_1)
	s_ashr_i32 s3, s14, 31
	s_waitcnt lgkmcnt(0)
	s_mul_hi_u32 s13, s4, s14
	s_mul_i32 s2, s4, s14
	s_mul_hi_u32 s26, s8, s14
	s_mul_i32 s4, s4, s3
	s_mul_i32 s27, s6, s3
	;; [unrolled: 1-line block ×4, first 2 shown]
	s_mul_hi_u32 s24, s6, s14
	s_mul_i32 s9, s9, s14
	s_add_i32 s4, s13, s4
	s_add_i32 s13, s26, s3
	s_mul_hi_u32 s25, s10, s14
	s_mul_i32 s5, s5, s14
	s_mul_i32 s7, s7, s14
	;; [unrolled: 1-line block ×3, first 2 shown]
	s_add_i32 s8, s24, s27
	s_add_i32 s13, s13, s9
	s_mul_i32 s11, s11, s14
	s_add_i32 s24, s25, s28
	s_add_i32 s3, s4, s5
	;; [unrolled: 1-line block ×3, first 2 shown]
	s_lshl_b64 s[8:9], s[12:13], 1
	s_add_i32 s7, s24, s11
	s_add_u32 s28, s20, s8
	s_addc_u32 s29, s21, s9
	s_lshl_b64 s[2:3], s[2:3], 1
	s_mul_i32 s4, s6, s14
	s_add_u32 s24, s16, s2
	s_addc_u32 s25, s17, s3
	s_lshl_b64 s[2:3], s[4:5], 1
	s_mul_i32 s6, s10, s14
	s_add_u32 s36, s18, s2
	s_addc_u32 s37, s19, s3
	s_lshl_b64 s[2:3], s[6:7], 1
	s_mul_hi_u32 s4, s51, s15
	s_add_u32 s12, s22, s2
	s_addc_u32 s13, s23, s3
	s_add_i32 s2, s15, s4
	s_load_b32 s5, s[0:1], 0x204
	s_lshr_b32 s7, s2, s47
	s_clause 0x1
	s_load_b32 s4, s[0:1], 0xc4
	s_load_b32 s10, s[0:1], 0x120
	s_mul_hi_u32 s2, s7, s50
	s_load_b32 s14, s[0:1], 0x78
	s_add_i32 s2, s7, s2
	s_load_b32 s3, s[0:1], 0x94
	s_lshr_b32 s11, s2, s46
	s_clause 0x1
	s_load_b32 s38, s[0:1], 0x148
	s_load_b256 s[16:23], s[0:1], 0x34
	s_mul_hi_u32 s2, s11, s49
	s_mul_i32 s8, s11, s42
	s_add_i32 s2, s11, s2
	s_sub_i32 s8, s7, s8
	s_lshr_b32 s26, s2, s45
	s_mul_i32 s7, s7, s43
	s_mul_hi_u32 s2, s26, s48
	s_sub_i32 s7, s15, s7
	s_add_i32 s6, s26, s2
	s_mov_b32 s27, 0x31004000
	s_lshr_b32 s6, s6, s44
	s_mov_b32 s39, s27
	s_mul_i32 s6, s6, s40
	s_load_b32 s40, s[0:1], 0x170
	s_sub_i32 s6, s26, s6
	s_mul_i32 s26, s26, s41
	s_waitcnt lgkmcnt(0)
	s_mul_i32 s6, s6, s5
	s_clause 0x1
	s_load_b32 s41, s[0:1], 0x198
	s_load_b32 s2, s[0:1], 0x9c
	s_add_i32 s8, s8, s6
	v_mul_lo_u32 v93, s4, v82
	s_lshl_b32 s30, s8, 7
	s_load_b32 s5, s[0:1], 0x8c
	v_or_b32_e32 v87, s30, v83
	s_load_b64 s[8:9], s[0:1], 0x60
	s_lshl_b32 s6, s4, 2
	s_sub_i32 s11, s11, s26
	v_mul_lo_u32 v92, s10, v82
	v_mul_hi_u32 v2, v87, s14
	s_load_b32 s14, s[0:1], 0x214
	v_mul_hi_u32 v1, v93, s3
	v_add_nc_u32_e32 v94, s6, v93
	s_lshl_b32 s42, s10, 2
	s_lshl_b32 s38, s38, 1
	;; [unrolled: 1-line block ×3, first 2 shown]
	v_mul_lo_u32 v95, s4, v84
	v_add_nc_u32_e32 v2, v87, v2
	v_mul_hi_u32 v3, v94, s3
	v_add_nc_u32_e32 v1, v93, v1
	v_dual_mov_b32 v55, 0 :: v_dual_lshlrev_b32 v84, 1, v0
	s_delay_alu instid0(VALU_DEP_4)
	v_lshrrev_b32_e32 v5, s31, v2
	v_mov_b32_e32 v33, 0
	s_waitcnt lgkmcnt(0)
	v_lshrrev_b32_e32 v4, s2, v1
	v_mul_hi_u32 v86, v95, s3
	v_add_nc_u32_e32 v2, v94, v3
	v_mul_lo_u32 v3, v5, s33
	v_and_b32_e32 v98, 0x1f8, v84
	v_and_b32_e32 v84, 0x1fc, v84
	v_mul_lo_u32 v1, v4, s8
	s_mul_i32 s11, s11, s14
	v_lshrrev_b32_e32 v96, s2, v2
	v_mul_lo_u32 v2, v4, s5
	s_add_i32 s7, s7, s11
	v_sub_nc_u32_e32 v3, v87, v3
	s_lshl_b32 s31, s7, 7
	v_mul_lo_u32 v6, v96, s5
	v_or_b32_e32 v97, s31, v83
	v_sub_nc_u32_e32 v4, v96, v4
	v_lshlrev_b32_e32 v0, 2, v0
	v_mad_u64_u32 v[17:18], null, v3, s9, v[1:2]
	v_sub_nc_u32_e32 v3, v93, v2
	s_load_b32 s9, s[0:1], 0xa8
	v_mad_u64_u32 v[1:2], null, v97, s35, v[92:93]
	v_sub_nc_u32_e32 v89, v94, v6
	v_mul_lo_u32 v90, v4, s8
	v_subrev_nc_u32_e32 v6, s21, v17
	v_mul_lo_u32 v2, v3, s18
	v_mul_lo_u32 v4, v5, s16
	v_sub_nc_u32_e32 v3, v89, v3
	v_add_nc_u32_e32 v91, s42, v1
	v_mul_lo_u32 v5, v6, s17
	v_lshlrev_b32_e32 v1, 1, v1
	v_mul_lo_u32 v6, v90, s17
	v_mul_lo_u32 v3, v3, s18
	v_lshlrev_b32_e32 v7, 1, v91
	v_sub_nc_u32_e32 v84, v84, v98
	buffer_load_b128 v[9:12], v1, s[36:39], 0 offen
	v_sub_nc_u32_e32 v98, v98, v99
	v_add_nc_u32_e32 v99, s6, v95
	buffer_load_b128 v[13:16], v7, s[36:39], 0 offen
	v_add3_u32 v1, v4, v2, v5
	v_add_nc_u32_e32 v86, v95, v86
	v_lshl_add_u32 v85, v85, 3, v84
	v_and_or_b32 v84, v0, 4, v98
	v_mul_hi_u32 v0, v99, s3
	v_add3_u32 v88, v3, v6, v1
	v_lshlrev_b32_e32 v1, 1, v1
	v_lshrrev_b32_e32 v100, s2, v86
	s_mul_i32 s10, s10, 12
	s_sub_i32 s20, s20, s22
	v_lshlrev_b32_e32 v2, 1, v88
	s_clause 0x1
	buffer_load_b128 v[5:8], v1, s[24:27], 0 offen
	buffer_load_b128 v[1:4], v2, s[24:27], 0 offen
	s_clause 0x3
	s_load_b32 s11, s[0:1], 0x104
	s_load_b32 s43, s[0:1], 0x110
	;; [unrolled: 1-line block ×3, first 2 shown]
	s_load_b64 s[34:35], s[0:1], 0x1a8
	v_mul_lo_u32 v98, v100, s5
	s_clause 0x4
	s_load_b32 s16, s[0:1], 0x1b4
	s_load_b32 s19, s[0:1], 0x1c0
	;; [unrolled: 1-line block ×3, first 2 shown]
	s_load_b64 s[14:15], s[0:1], 0x158
	s_load_b32 s33, s[0:1], 0x164
	v_add_nc_u32_e32 v91, s10, v91
	v_dual_mov_b32 v18, 0 :: v_dual_lshlrev_b32 v83, 2, v83
	s_delay_alu instid0(VALU_DEP_1)
	v_lshl_or_b32 v86, v82, 9, v83
	v_lshlrev_b32_e32 v83, 2, v84
	v_lshlrev_b32_e32 v82, 2, v85
	s_waitcnt lgkmcnt(0)
	v_cmp_gt_i32_e64 s3, s43, v92
	v_cmp_gt_i32_e64 s0, s7, v93
	v_add_nc_u32_e32 v93, v99, v0
	v_add_nc_u32_e32 v92, s42, v92
	v_sub_nc_u32_e32 v0, v95, v98
	v_cmp_gt_i32_e32 vcc_lo, s7, v95
	v_cmp_gt_i32_e64 s1, s7, v99
	v_lshrrev_b32_e32 v93, s2, v93
	v_add_nc_u32_e32 v98, s10, v92
	v_cmp_gt_i32_e64 s4, s43, v92
	v_cmp_gt_i32_e64 s2, s7, v94
	v_sub_nc_u32_e32 v89, v0, v89
	v_sub_nc_u32_e32 v92, v93, v100
	v_cmp_gt_i32_e64 s7, s43, v98
	s_delay_alu instid0(VALU_DEP_2)
	v_mul_lo_u32 v92, v92, s8
	s_waitcnt vmcnt(0)
	v_mad_u64_u32 v[94:95], null, v93, s5, v[0:1]
	v_add_nc_u32_e32 v93, s42, v98
	v_sub_nc_u32_e32 v95, v100, v96
	v_cmp_gt_i32_e64 s5, s11, v97
	v_mul_lo_u32 v0, v92, s17
	v_add_nc_u32_e32 v96, v17, v90
	v_cmp_gt_i32_e64 s6, s43, v93
	v_mul_lo_u32 v93, v95, s8
	s_and_b32 s3, s3, s5
	s_and_b32 s4, s4, s5
	;; [unrolled: 1-line block ×4, first 2 shown]
	v_cmp_gt_i32_e64 s6, s9, v87
	v_mul_lo_u32 v95, v89, s18
	v_sub_nc_u32_e32 v94, v99, v94
	v_mul_lo_u32 v87, v93, s17
	v_cmp_le_i32_e64 s8, s21, v17
	v_cmp_gt_i32_e64 s9, s20, v17
	v_add_nc_u32_e32 v17, v96, v93
	v_cmp_le_i32_e64 s10, s21, v96
	v_cmp_gt_i32_e64 s11, s20, v96
	v_mad_u64_u32 v[89:90], null, v94, s18, v[0:1]
	s_and_b32 s8, s8, s9
	v_lshlrev_b32_e32 v0, 1, v91
	v_add_lshl_u32 v90, v91, s42, 1
	v_add_nc_u32_e32 v91, v17, v92
	s_and_b32 s17, s0, s8
	v_cmp_le_i32_e64 s0, s21, v17
	v_cmp_gt_i32_e64 s8, s20, v17
	v_add3_u32 v17, v95, v87, v88
	s_and_b32 s11, s10, s11
	v_cndmask_b32_e64 v10, 0, v10, s3
	s_and_b32 s11, s2, s11
	s_and_b32 s2, s6, s17
	v_lshlrev_b32_e32 v87, 1, v17
	v_cndmask_b32_e64 v9, 0, v9, s3
	v_cndmask_b32_e64 v16, 0, v16, s4
	;; [unrolled: 1-line block ×3, first 2 shown]
	s_and_b32 s11, s6, s11
	v_add_lshl_u32 v17, v89, v17, 1
	v_cndmask_b32_e64 v12, 0, v12, s3
	v_cndmask_b32_e64 v11, 0, v11, s3
	v_cndmask_b32_e64 v6, 0, v6, s2
	v_cndmask_b32_e64 v5, 0, v5, s2
	v_cndmask_b32_e64 v14, 0, v14, s4
	v_cndmask_b32_e64 v13, 0, v13, s4
	v_cndmask_b32_e64 v8, 0, v8, s2
	v_cndmask_b32_e64 v7, 0, v7, s2
	v_cndmask_b32_e64 v2, 0, v2, s11
	v_cndmask_b32_e64 v1, 0, v1, s11
	v_cndmask_b32_e64 v4, 0, v4, s11
	v_cndmask_b32_e64 v3, 0, v3, s11
	ds_store_2addr_stride64_b32 v86, v9, v10 offset0:64 offset1:66
	ds_store_2addr_stride64_b32 v86, v11, v12 offset0:68 offset1:70
	;; [unrolled: 1-line block ×4, first 2 shown]
	ds_store_2addr_stride64_b32 v86, v5, v6 offset1:2
	ds_store_2addr_stride64_b32 v86, v7, v8 offset0:4 offset1:6
	ds_store_2addr_stride64_b32 v86, v1, v2 offset0:8 offset1:10
	;; [unrolled: 1-line block ×3, first 2 shown]
	s_waitcnt lgkmcnt(0)
	s_barrier
	s_clause 0x1
	buffer_load_b128 v[12:15], v87, s[24:27], 0 offen
	buffer_load_b128 v[8:11], v17, s[24:27], 0 offen
	s_clause 0x1
	buffer_load_b128 v[4:7], v0, s[36:39], 0 offen
	buffer_load_b128 v[0:3], v90, s[36:39], 0 offen
	v_cmp_le_i32_e64 s9, s21, v91
	v_cmp_gt_i32_e64 s10, s20, v91
	ds_load_b128 v[87:90], v83 offset:16384
	ds_load_b128 v[91:94], v83 offset:16640
	ds_load_b128 v[95:98], v82
	ds_load_b128 v[99:102], v82 offset:256
	ds_load_b128 v[103:106], v83 offset:16896
	;; [unrolled: 1-line block ×21, first 2 shown]
	s_waitcnt lgkmcnt(21)
	v_dot2acc_f32_f16 v78, v96, v92
	v_dot2acc_f32_f16 v76, v95, v87
	;; [unrolled: 1-line block ×4, first 2 shown]
	v_dual_dot2acc_f32_f16 v49, v95, v90 :: v_dual_dot2acc_f32_f16 v70, v96, v87
	v_dot2acc_f32_f16 v71, v96, v88
	v_dot2acc_f32_f16 v42, v96, v89
	v_dual_dot2acc_f32_f16 v43, v96, v90 :: v_dual_dot2acc_f32_f16 v64, v97, v87
	v_dot2acc_f32_f16 v65, v97, v88
	v_dot2acc_f32_f16 v38, v97, v89
	;; [unrolled: 1-line block ×4, first 2 shown]
	v_dual_dot2acc_f32_f16 v59, v98, v88 :: v_dual_dot2acc_f32_f16 v44, v96, v93
	v_dual_dot2acc_f32_f16 v31, v98, v89 :: v_dual_dot2acc_f32_f16 v40, v97, v94
	;; [unrolled: 1-line block ×3, first 2 shown]
	v_dot2acc_f32_f16 v36, v98, v93
	v_dot2acc_f32_f16 v80, v95, v92
	;; [unrolled: 1-line block ×3, first 2 shown]
	s_waitcnt lgkmcnt(20)
	v_dual_dot2acc_f32_f16 v47, v95, v94 :: v_dual_dot2acc_f32_f16 v60, v100, v87
	v_dual_dot2acc_f32_f16 v79, v96, v91 :: v_dual_dot2acc_f32_f16 v18, v99, v89
	v_dual_dot2acc_f32_f16 v45, v96, v94 :: v_dual_dot2acc_f32_f16 v62, v99, v87
	v_dual_dot2acc_f32_f16 v75, v97, v91 :: v_dual_dot2acc_f32_f16 v56, v100, v88
	v_dual_dot2acc_f32_f16 v73, v97, v92 :: v_dual_dot2acc_f32_f16 v34, v102, v89
	v_dual_dot2acc_f32_f16 v39, v97, v93 :: v_dual_dot2acc_f32_f16 v50, v102, v88
	v_dual_dot2acc_f32_f16 v69, v98, v91 :: v_dual_dot2acc_f32_f16 v54, v101, v88
	v_dual_dot2acc_f32_f16 v67, v98, v92 :: v_dual_dot2acc_f32_f16 v52, v101, v87
	v_dual_dot2acc_f32_f16 v37, v98, v94 :: v_dual_dot2acc_f32_f16 v74, v99, v91
	v_dual_dot2acc_f32_f16 v63, v99, v88 :: v_dual_dot2acc_f32_f16 v28, v101, v90
	v_dual_dot2acc_f32_f16 v19, v99, v90 :: v_dual_dot2acc_f32_f16 v68, v100, v91
	v_dual_dot2acc_f32_f16 v23, v100, v89 :: v_dual_dot2acc_f32_f16 v72, v99, v92
	v_dual_dot2acc_f32_f16 v25, v100, v90 :: v_dual_dot2acc_f32_f16 v20, v99, v93
	v_dual_dot2acc_f32_f16 v27, v101, v89 :: v_dual_dot2acc_f32_f16 v66, v100, v92
	v_dual_dot2acc_f32_f16 v51, v102, v87 :: v_dual_dot2acc_f32_f16 v22, v100, v93
	v_dual_dot2acc_f32_f16 v35, v102, v90 :: v_dual_dot2acc_f32_f16 v58, v101, v92
	s_waitcnt lgkmcnt(17)
	v_dual_dot2acc_f32_f16 v21, v99, v94 :: v_dual_dot2acc_f32_f16 v70, v112, v103
	v_dual_dot2acc_f32_f16 v24, v100, v94 :: v_dual_dot2acc_f32_f16 v61, v101, v91
	v_dual_dot2acc_f32_f16 v29, v101, v93 :: v_dual_dot2acc_f32_f16 v26, v102, v94
	v_dual_dot2acc_f32_f16 v30, v101, v94 :: v_dual_dot2acc_f32_f16 v53, v102, v91
	v_dual_dot2acc_f32_f16 v55, v102, v92 :: v_dual_dot2acc_f32_f16 v76, v111, v103
	v_dual_dot2acc_f32_f16 v33, v102, v93 :: v_dual_dot2acc_f32_f16 v64, v113, v103
	v_dual_dot2acc_f32_f16 v77, v111, v104 :: v_dual_dot2acc_f32_f16 v42, v112, v105
	v_dual_dot2acc_f32_f16 v48, v111, v105 :: v_dual_dot2acc_f32_f16 v71, v112, v104
	v_dual_dot2acc_f32_f16 v49, v111, v106 :: v_dual_dot2acc_f32_f16 v38, v113, v105
	v_dual_dot2acc_f32_f16 v43, v112, v106 :: v_dual_dot2acc_f32_f16 v80, v111, v108
	v_dual_dot2acc_f32_f16 v65, v113, v104 :: v_dual_dot2acc_f32_f16 v32, v114, v106
	v_dual_dot2acc_f32_f16 v41, v113, v106 :: v_dual_dot2acc_f32_f16 v46, v111, v109
	v_dual_dot2acc_f32_f16 v57, v114, v103 :: v_dual_dot2acc_f32_f16 v78, v112, v108
	v_dual_dot2acc_f32_f16 v59, v114, v104 :: v_dual_dot2acc_f32_f16 v44, v112, v109
	v_dual_dot2acc_f32_f16 v31, v114, v105 :: v_dual_dot2acc_f32_f16 v40, v113, v110
	v_dual_dot2acc_f32_f16 v81, v111, v107 :: v_dual_dot2acc_f32_f16 v36, v114, v109
	;; [unrolled: 17-line block ×3, first 2 shown]
	s_waitcnt lgkmcnt(13)
	v_dual_dot2acc_f32_f16 v21, v115, v110 :: v_dual_dot2acc_f32_f16 v70, v128, v119
	v_dual_dot2acc_f32_f16 v24, v116, v110 :: v_dual_dot2acc_f32_f16 v61, v117, v107
	;; [unrolled: 1-line block ×6, first 2 shown]
	ds_load_b128 v[95:98], v83 offset:19456
	ds_load_b128 v[87:90], v83 offset:19712
	;; [unrolled: 1-line block ×4, first 2 shown]
	v_dual_dot2acc_f32_f16 v77, v127, v120 :: v_dual_dot2acc_f32_f16 v42, v128, v121
	v_dual_dot2acc_f32_f16 v48, v127, v121 :: v_dual_dot2acc_f32_f16 v71, v128, v120
	v_dual_dot2acc_f32_f16 v49, v127, v122 :: v_dual_dot2acc_f32_f16 v38, v129, v121
	v_dual_dot2acc_f32_f16 v43, v128, v122 :: v_dual_dot2acc_f32_f16 v80, v127, v124
	v_dual_dot2acc_f32_f16 v65, v129, v120 :: v_dual_dot2acc_f32_f16 v32, v130, v122
	v_dual_dot2acc_f32_f16 v41, v129, v122 :: v_dual_dot2acc_f32_f16 v46, v127, v125
	v_dual_dot2acc_f32_f16 v57, v130, v119 :: v_dual_dot2acc_f32_f16 v78, v128, v124
	v_dual_dot2acc_f32_f16 v59, v130, v120 :: v_dual_dot2acc_f32_f16 v44, v128, v125
	v_dual_dot2acc_f32_f16 v31, v130, v121 :: v_dual_dot2acc_f32_f16 v40, v129, v126
	v_dual_dot2acc_f32_f16 v81, v127, v123 :: v_dual_dot2acc_f32_f16 v36, v130, v125
	s_waitcnt lgkmcnt(16)
	v_dual_dot2acc_f32_f16 v47, v127, v126 :: v_dual_dot2acc_f32_f16 v60, v132, v119
	v_dual_dot2acc_f32_f16 v79, v128, v123 :: v_dual_dot2acc_f32_f16 v18, v131, v121
	v_dual_dot2acc_f32_f16 v45, v128, v126 :: v_dual_dot2acc_f32_f16 v62, v131, v119
	v_dual_dot2acc_f32_f16 v75, v129, v123 :: v_dual_dot2acc_f32_f16 v56, v132, v120
	v_dual_dot2acc_f32_f16 v73, v129, v124 :: v_dual_dot2acc_f32_f16 v34, v134, v121
	v_dual_dot2acc_f32_f16 v39, v129, v125 :: v_dual_dot2acc_f32_f16 v50, v134, v120
	v_dual_dot2acc_f32_f16 v69, v130, v123 :: v_dual_dot2acc_f32_f16 v54, v133, v120
	v_dual_dot2acc_f32_f16 v67, v130, v124 :: v_dual_dot2acc_f32_f16 v52, v133, v119
	v_dual_dot2acc_f32_f16 v37, v130, v126 :: v_dual_dot2acc_f32_f16 v74, v131, v123
	v_dual_dot2acc_f32_f16 v63, v131, v120 :: v_dual_dot2acc_f32_f16 v28, v133, v122
	v_dual_dot2acc_f32_f16 v19, v131, v122 :: v_dual_dot2acc_f32_f16 v68, v132, v123
	v_dual_dot2acc_f32_f16 v23, v132, v121 :: v_dual_dot2acc_f32_f16 v72, v131, v124
	v_dual_dot2acc_f32_f16 v25, v132, v122 :: v_dual_dot2acc_f32_f16 v20, v131, v125
	v_dual_dot2acc_f32_f16 v27, v133, v121 :: v_dual_dot2acc_f32_f16 v66, v132, v124
	v_dual_dot2acc_f32_f16 v51, v134, v119 :: v_dual_dot2acc_f32_f16 v22, v132, v125
	v_dual_dot2acc_f32_f16 v35, v134, v122 :: v_dual_dot2acc_f32_f16 v58, v133, v124
	s_waitcnt lgkmcnt(13)
	v_dual_dot2acc_f32_f16 v21, v131, v126 :: v_dual_dot2acc_f32_f16 v70, v144, v135
	v_dual_dot2acc_f32_f16 v24, v132, v126 :: v_dual_dot2acc_f32_f16 v61, v133, v123
	v_dual_dot2acc_f32_f16 v29, v133, v125 :: v_dual_dot2acc_f32_f16 v26, v134, v126
	v_dual_dot2acc_f32_f16 v30, v133, v126 :: v_dual_dot2acc_f32_f16 v53, v134, v123
	v_dual_dot2acc_f32_f16 v55, v134, v124 :: v_dual_dot2acc_f32_f16 v76, v143, v135
	v_dual_dot2acc_f32_f16 v33, v134, v125 :: v_dual_dot2acc_f32_f16 v64, v145, v135
	v_dual_dot2acc_f32_f16 v77, v143, v136 :: v_dual_dot2acc_f32_f16 v42, v144, v137
	v_dual_dot2acc_f32_f16 v48, v143, v137 :: v_dual_dot2acc_f32_f16 v71, v144, v136
	v_dual_dot2acc_f32_f16 v49, v143, v138 :: v_dual_dot2acc_f32_f16 v38, v145, v137
	v_dual_dot2acc_f32_f16 v43, v144, v138 :: v_dual_dot2acc_f32_f16 v80, v143, v140
	v_dual_dot2acc_f32_f16 v65, v145, v136 :: v_dual_dot2acc_f32_f16 v32, v146, v138
	v_dual_dot2acc_f32_f16 v41, v145, v138 :: v_dual_dot2acc_f32_f16 v46, v143, v141
	v_dual_dot2acc_f32_f16 v57, v146, v135 :: v_dual_dot2acc_f32_f16 v78, v144, v140
	v_dual_dot2acc_f32_f16 v59, v146, v136 :: v_dual_dot2acc_f32_f16 v44, v144, v141
	v_dual_dot2acc_f32_f16 v31, v146, v137 :: v_dual_dot2acc_f32_f16 v40, v145, v142
	v_dual_dot2acc_f32_f16 v81, v143, v139 :: v_dual_dot2acc_f32_f16 v36, v146, v141
	s_waitcnt lgkmcnt(12)
	v_dual_dot2acc_f32_f16 v47, v143, v142 :: v_dual_dot2acc_f32_f16 v60, v148, v135
	v_dual_dot2acc_f32_f16 v79, v144, v139 :: v_dual_dot2acc_f32_f16 v18, v147, v137
	v_dual_dot2acc_f32_f16 v45, v144, v142 :: v_dual_dot2acc_f32_f16 v62, v147, v135
	v_dual_dot2acc_f32_f16 v75, v145, v139 :: v_dual_dot2acc_f32_f16 v56, v148, v136
	v_dual_dot2acc_f32_f16 v73, v145, v140 :: v_dual_dot2acc_f32_f16 v34, v150, v137
	v_dual_dot2acc_f32_f16 v39, v145, v141 :: v_dual_dot2acc_f32_f16 v50, v150, v136
	v_dual_dot2acc_f32_f16 v69, v146, v139 :: v_dual_dot2acc_f32_f16 v54, v149, v136
	v_dual_dot2acc_f32_f16 v67, v146, v140 :: v_dual_dot2acc_f32_f16 v52, v149, v135
	v_dual_dot2acc_f32_f16 v37, v146, v142 :: v_dual_dot2acc_f32_f16 v74, v147, v139
	v_dual_dot2acc_f32_f16 v63, v147, v136 :: v_dual_dot2acc_f32_f16 v28, v149, v138
	v_dual_dot2acc_f32_f16 v19, v147, v138 :: v_dual_dot2acc_f32_f16 v68, v148, v139
	v_dual_dot2acc_f32_f16 v23, v148, v137 :: v_dual_dot2acc_f32_f16 v72, v147, v140
	v_dual_dot2acc_f32_f16 v25, v148, v138 :: v_dual_dot2acc_f32_f16 v20, v147, v141
	v_dual_dot2acc_f32_f16 v27, v149, v137 :: v_dual_dot2acc_f32_f16 v66, v148, v140
	v_dual_dot2acc_f32_f16 v51, v150, v135 :: v_dual_dot2acc_f32_f16 v22, v148, v141
	v_dual_dot2acc_f32_f16 v35, v150, v138 :: v_dual_dot2acc_f32_f16 v58, v149, v140
	s_waitcnt lgkmcnt(9)
	v_dual_dot2acc_f32_f16 v21, v147, v142 :: v_dual_dot2acc_f32_f16 v70, v160, v151
	v_dual_dot2acc_f32_f16 v24, v148, v142 :: v_dual_dot2acc_f32_f16 v61, v149, v139
	v_dual_dot2acc_f32_f16 v29, v149, v141 :: v_dual_dot2acc_f32_f16 v26, v150, v142
	v_dual_dot2acc_f32_f16 v30, v149, v142 :: v_dual_dot2acc_f32_f16 v53, v150, v139
	v_dual_dot2acc_f32_f16 v55, v150, v140 :: v_dual_dot2acc_f32_f16 v76, v159, v151
	v_dual_dot2acc_f32_f16 v33, v150, v141 :: v_dual_dot2acc_f32_f16 v64, v161, v151
	v_dual_dot2acc_f32_f16 v77, v159, v152 :: v_dual_dot2acc_f32_f16 v42, v160, v153
	v_dual_dot2acc_f32_f16 v48, v159, v153 :: v_dual_dot2acc_f32_f16 v71, v160, v152
	v_dual_dot2acc_f32_f16 v49, v159, v154 :: v_dual_dot2acc_f32_f16 v38, v161, v153
	v_dual_dot2acc_f32_f16 v43, v160, v154 :: v_dual_dot2acc_f32_f16 v80, v159, v156
	v_dual_dot2acc_f32_f16 v65, v161, v152 :: v_dual_dot2acc_f32_f16 v32, v162, v154
	v_dual_dot2acc_f32_f16 v41, v161, v154 :: v_dual_dot2acc_f32_f16 v46, v159, v157
	v_dual_dot2acc_f32_f16 v57, v162, v151 :: v_dual_dot2acc_f32_f16 v78, v160, v156
	v_dual_dot2acc_f32_f16 v59, v162, v152 :: v_dual_dot2acc_f32_f16 v44, v160, v157
	v_dual_dot2acc_f32_f16 v31, v162, v153 :: v_dual_dot2acc_f32_f16 v40, v161, v158
	v_dual_dot2acc_f32_f16 v81, v159, v155 :: v_dual_dot2acc_f32_f16 v36, v162, v157
	s_waitcnt lgkmcnt(8)
	v_dual_dot2acc_f32_f16 v47, v159, v158 :: v_dual_dot2acc_f32_f16 v60, v164, v151
	v_dual_dot2acc_f32_f16 v79, v160, v155 :: v_dual_dot2acc_f32_f16 v18, v163, v153
	v_dual_dot2acc_f32_f16 v45, v160, v158 :: v_dual_dot2acc_f32_f16 v62, v163, v151
	v_dual_dot2acc_f32_f16 v75, v161, v155 :: v_dual_dot2acc_f32_f16 v56, v164, v152
	v_dual_dot2acc_f32_f16 v73, v161, v156 :: v_dual_dot2acc_f32_f16 v34, v166, v153
	v_dual_dot2acc_f32_f16 v39, v161, v157 :: v_dual_dot2acc_f32_f16 v50, v166, v152
	v_dual_dot2acc_f32_f16 v69, v162, v155 :: v_dual_dot2acc_f32_f16 v54, v165, v152
	v_dual_dot2acc_f32_f16 v67, v162, v156 :: v_dual_dot2acc_f32_f16 v52, v165, v151
	v_dual_dot2acc_f32_f16 v37, v162, v158 :: v_dual_dot2acc_f32_f16 v74, v163, v155
	v_dual_dot2acc_f32_f16 v63, v163, v152 :: v_dual_dot2acc_f32_f16 v28, v165, v154
	v_dual_dot2acc_f32_f16 v19, v163, v154 :: v_dual_dot2acc_f32_f16 v68, v164, v155
	v_dual_dot2acc_f32_f16 v23, v164, v153 :: v_dual_dot2acc_f32_f16 v72, v163, v156
	v_dual_dot2acc_f32_f16 v25, v164, v154 :: v_dual_dot2acc_f32_f16 v20, v163, v157
	v_dual_dot2acc_f32_f16 v27, v165, v153 :: v_dual_dot2acc_f32_f16 v66, v164, v156
	v_dual_dot2acc_f32_f16 v51, v166, v151 :: v_dual_dot2acc_f32_f16 v22, v164, v157
	v_dual_dot2acc_f32_f16 v35, v166, v154 :: v_dual_dot2acc_f32_f16 v58, v165, v156
	s_waitcnt lgkmcnt(5)
	v_dual_dot2acc_f32_f16 v21, v163, v158 :: v_dual_dot2acc_f32_f16 v70, v176, v167
	v_dual_dot2acc_f32_f16 v24, v164, v158 :: v_dual_dot2acc_f32_f16 v61, v165, v155
	v_dual_dot2acc_f32_f16 v29, v165, v157 :: v_dual_dot2acc_f32_f16 v26, v166, v158
	v_dual_dot2acc_f32_f16 v30, v165, v158 :: v_dual_dot2acc_f32_f16 v53, v166, v155
	v_dual_dot2acc_f32_f16 v55, v166, v156 :: v_dual_dot2acc_f32_f16 v76, v175, v167
	v_dual_dot2acc_f32_f16 v33, v166, v157 :: v_dual_dot2acc_f32_f16 v64, v177, v167
	ds_load_b128 v[111:114], v83 offset:19968
	ds_load_b128 v[103:106], v83 offset:20224
	;; [unrolled: 1-line block ×4, first 2 shown]
	v_dual_dot2acc_f32_f16 v77, v175, v168 :: v_dual_dot2acc_f32_f16 v42, v176, v169
	v_dual_dot2acc_f32_f16 v48, v175, v169 :: v_dual_dot2acc_f32_f16 v71, v176, v168
	v_dual_dot2acc_f32_f16 v49, v175, v170 :: v_dual_dot2acc_f32_f16 v38, v177, v169
	v_dual_dot2acc_f32_f16 v43, v176, v170 :: v_dual_dot2acc_f32_f16 v80, v175, v172
	v_dual_dot2acc_f32_f16 v65, v177, v168 :: v_dual_dot2acc_f32_f16 v32, v178, v170
	v_dual_dot2acc_f32_f16 v41, v177, v170 :: v_dual_dot2acc_f32_f16 v46, v175, v173
	v_dual_dot2acc_f32_f16 v57, v178, v167 :: v_dual_dot2acc_f32_f16 v78, v176, v172
	v_dual_dot2acc_f32_f16 v59, v178, v168 :: v_dual_dot2acc_f32_f16 v44, v176, v173
	v_dual_dot2acc_f32_f16 v31, v178, v169 :: v_dual_dot2acc_f32_f16 v40, v177, v174
	v_dual_dot2acc_f32_f16 v81, v175, v171 :: v_dual_dot2acc_f32_f16 v36, v178, v173
	s_waitcnt lgkmcnt(8)
	v_dual_dot2acc_f32_f16 v47, v175, v174 :: v_dual_dot2acc_f32_f16 v60, v180, v167
	v_dual_dot2acc_f32_f16 v79, v176, v171 :: v_dual_dot2acc_f32_f16 v18, v179, v169
	v_dual_dot2acc_f32_f16 v45, v176, v174 :: v_dual_dot2acc_f32_f16 v62, v179, v167
	v_dual_dot2acc_f32_f16 v75, v177, v171 :: v_dual_dot2acc_f32_f16 v56, v180, v168
	v_dual_dot2acc_f32_f16 v73, v177, v172 :: v_dual_dot2acc_f32_f16 v34, v182, v169
	v_dual_dot2acc_f32_f16 v39, v177, v173 :: v_dual_dot2acc_f32_f16 v50, v182, v168
	v_dual_dot2acc_f32_f16 v69, v178, v171 :: v_dual_dot2acc_f32_f16 v54, v181, v168
	v_dual_dot2acc_f32_f16 v67, v178, v172 :: v_dual_dot2acc_f32_f16 v52, v181, v167
	v_dual_dot2acc_f32_f16 v37, v178, v174 :: v_dual_dot2acc_f32_f16 v74, v179, v171
	v_dual_dot2acc_f32_f16 v63, v179, v168 :: v_dual_dot2acc_f32_f16 v28, v181, v170
	v_dual_dot2acc_f32_f16 v19, v179, v170 :: v_dual_dot2acc_f32_f16 v68, v180, v171
	v_dual_dot2acc_f32_f16 v23, v180, v169 :: v_dual_dot2acc_f32_f16 v72, v179, v172
	v_dual_dot2acc_f32_f16 v25, v180, v170 :: v_dual_dot2acc_f32_f16 v20, v179, v173
	v_dual_dot2acc_f32_f16 v27, v181, v169 :: v_dual_dot2acc_f32_f16 v66, v180, v172
	v_dual_dot2acc_f32_f16 v51, v182, v167 :: v_dual_dot2acc_f32_f16 v22, v180, v173
	v_dual_dot2acc_f32_f16 v35, v182, v170 :: v_dual_dot2acc_f32_f16 v58, v181, v172
	s_waitcnt lgkmcnt(5)
	v_dual_dot2acc_f32_f16 v21, v179, v174 :: v_dual_dot2acc_f32_f16 v70, v92, v95
	v_dual_dot2acc_f32_f16 v24, v180, v174 :: v_dual_dot2acc_f32_f16 v61, v181, v171
	v_dual_dot2acc_f32_f16 v29, v181, v173 :: v_dual_dot2acc_f32_f16 v26, v182, v174
	v_dual_dot2acc_f32_f16 v30, v181, v174 :: v_dual_dot2acc_f32_f16 v53, v182, v171
	v_dual_dot2acc_f32_f16 v55, v182, v172 :: v_dual_dot2acc_f32_f16 v76, v91, v95
	v_dual_dot2acc_f32_f16 v33, v182, v173 :: v_dual_dot2acc_f32_f16 v64, v93, v95
	;; [unrolled: 17-line block ×4, first 2 shown]
	ds_load_b128 v[87:90], v82 offset:4096
	ds_load_b128 v[99:102], v82 offset:4352
	;; [unrolled: 1-line block ×4, first 2 shown]
	s_and_b32 s0, s0, s8
	s_and_b32 s8, s9, s10
	s_and_b32 s0, vcc_lo, s0
	s_and_b32 s1, s1, s8
	v_dual_dot2acc_f32_f16 v77, v107, v112 :: v_dual_dot2acc_f32_f16 v42, v108, v113
	s_and_b32 vcc_lo, s6, s1
	v_dual_dot2acc_f32_f16 v48, v107, v113 :: v_dual_dot2acc_f32_f16 v71, v108, v112
	v_dual_dot2acc_f32_f16 v49, v107, v114 :: v_dual_dot2acc_f32_f16 v38, v109, v113
	;; [unrolled: 1-line block ×7, first 2 shown]
	s_waitcnt vmcnt(2)
	v_dual_dot2acc_f32_f16 v31, v110, v113 :: v_dual_cndmask_b32 v10, 0, v10
	v_dual_dot2acc_f32_f16 v81, v107, v103 :: v_dual_cndmask_b32 v8, 0, v8
	v_dual_dot2acc_f32_f16 v47, v107, v106 :: v_dual_dot2acc_f32_f16 v36, v110, v105
	v_dual_dot2acc_f32_f16 v79, v108, v103 :: v_dual_dot2acc_f32_f16 v40, v109, v106
	s_waitcnt lgkmcnt(4)
	v_dual_dot2acc_f32_f16 v45, v108, v106 :: v_dual_dot2acc_f32_f16 v62, v115, v111
	v_dual_dot2acc_f32_f16 v75, v109, v103 :: v_dual_dot2acc_f32_f16 v18, v115, v113
	;; [unrolled: 1-line block ×3, first 2 shown]
	v_dual_cndmask_b32 v11, 0, v11 :: v_dual_dot2acc_f32_f16 v56, v116, v112
	v_dual_cndmask_b32 v9, 0, v9 :: v_dual_dot2acc_f32_f16 v52, v117, v111
	v_dual_dot2acc_f32_f16 v39, v109, v105 :: v_dual_dot2acc_f32_f16 v50, v118, v112
	v_dual_dot2acc_f32_f16 v69, v110, v103 :: v_dual_dot2acc_f32_f16 v54, v117, v112
	;; [unrolled: 1-line block ×11, first 2 shown]
	s_waitcnt lgkmcnt(1)
	v_dual_dot2acc_f32_f16 v21, v115, v106 :: v_dual_dot2acc_f32_f16 v70, v88, v91
	v_dual_dot2acc_f32_f16 v24, v116, v106 :: v_dual_dot2acc_f32_f16 v61, v117, v103
	v_dual_dot2acc_f32_f16 v29, v117, v105 :: v_dual_dot2acc_f32_f16 v26, v118, v106
	v_dual_dot2acc_f32_f16 v30, v117, v106 :: v_dual_dot2acc_f32_f16 v53, v118, v103
	v_dual_dot2acc_f32_f16 v55, v118, v104 :: v_dual_dot2acc_f32_f16 v76, v87, v91
	v_dual_dot2acc_f32_f16 v33, v118, v105 :: v_dual_dot2acc_f32_f16 v64, v89, v91
	v_dual_dot2acc_f32_f16 v77, v87, v92 :: v_dual_dot2acc_f32_f16 v42, v88, v93
	v_dual_dot2acc_f32_f16 v48, v87, v93 :: v_dual_dot2acc_f32_f16 v71, v88, v92
	v_dual_dot2acc_f32_f16 v49, v87, v94 :: v_dual_dot2acc_f32_f16 v38, v89, v93
	s_waitcnt lgkmcnt(0)
	v_dual_dot2acc_f32_f16 v43, v88, v94 :: v_dual_dot2acc_f32_f16 v80, v87, v96
	v_dual_dot2acc_f32_f16 v65, v89, v92 :: v_dual_dot2acc_f32_f16 v32, v90, v94
	;; [unrolled: 1-line block ×16, first 2 shown]
	ds_load_b128 v[87:90], v82 offset:4608
	v_dual_dot2acc_f32_f16 v63, v99, v92 :: v_dual_dot2acc_f32_f16 v28, v101, v94
	v_dual_dot2acc_f32_f16 v19, v99, v94 :: v_dual_dot2acc_f32_f16 v68, v100, v95
	;; [unrolled: 1-line block ×6, first 2 shown]
	ds_load_b128 v[103:106], v83 offset:20992
	v_dual_dot2acc_f32_f16 v35, v102, v94 :: v_dual_dot2acc_f32_f16 v58, v101, v96
	v_dual_dot2acc_f32_f16 v24, v100, v98 :: v_dual_dot2acc_f32_f16 v61, v101, v95
	;; [unrolled: 1-line block ×4, first 2 shown]
	ds_load_b128 v[91:94], v83 offset:21248
	v_dot2acc_f32_f16 v21, v99, v98
	v_dot2acc_f32_f16 v55, v102, v96
	;; [unrolled: 1-line block ×3, first 2 shown]
	ds_load_b128 v[95:98], v82 offset:4864
	ds_load_b128 v[99:102], v83 offset:21504
	s_and_b32 s0, s6, s0
	s_waitcnt vmcnt(1)
	v_cndmask_b32_e64 v7, 0, v7, s7
	v_cndmask_b32_e64 v13, 0, v13, s0
	;; [unrolled: 1-line block ×4, first 2 shown]
	s_waitcnt lgkmcnt(3)
	v_dot2acc_f32_f16 v76, v87, v103
	v_dual_dot2acc_f32_f16 v77, v87, v104 :: v_dual_dot2acc_f32_f16 v42, v88, v105
	v_dual_dot2acc_f32_f16 v48, v87, v105 :: v_dual_dot2acc_f32_f16 v71, v88, v104
	;; [unrolled: 1-line block ×3, first 2 shown]
	v_dot2acc_f32_f16 v70, v88, v103
	s_waitcnt lgkmcnt(2)
	v_dual_dot2acc_f32_f16 v43, v88, v106 :: v_dual_dot2acc_f32_f16 v80, v87, v92
	v_dot2acc_f32_f16 v64, v89, v103
	v_dual_dot2acc_f32_f16 v65, v89, v104 :: v_dual_dot2acc_f32_f16 v32, v90, v106
	v_dual_dot2acc_f32_f16 v41, v89, v106 :: v_dual_dot2acc_f32_f16 v46, v87, v93
	;; [unrolled: 1-line block ×6, first 2 shown]
	s_waitcnt lgkmcnt(1)
	v_dual_dot2acc_f32_f16 v47, v87, v94 :: v_dual_dot2acc_f32_f16 v60, v96, v103
	v_dual_dot2acc_f32_f16 v79, v88, v91 :: v_dual_dot2acc_f32_f16 v18, v95, v105
	v_dual_dot2acc_f32_f16 v45, v88, v94 :: v_dual_dot2acc_f32_f16 v62, v95, v103
	v_dual_dot2acc_f32_f16 v75, v89, v91 :: v_dual_dot2acc_f32_f16 v56, v96, v104
	v_dual_dot2acc_f32_f16 v73, v89, v92 :: v_dual_dot2acc_f32_f16 v34, v98, v105
	v_dual_dot2acc_f32_f16 v39, v89, v93 :: v_dual_dot2acc_f32_f16 v50, v98, v104
	v_dual_dot2acc_f32_f16 v69, v90, v91 :: v_dual_dot2acc_f32_f16 v54, v97, v104
	v_dual_dot2acc_f32_f16 v67, v90, v92 :: v_dual_dot2acc_f32_f16 v52, v97, v103
	v_dual_dot2acc_f32_f16 v37, v90, v94 :: v_dual_dot2acc_f32_f16 v74, v95, v91
	ds_load_b128 v[87:90], v82 offset:5120
	v_dual_dot2acc_f32_f16 v63, v95, v104 :: v_dual_dot2acc_f32_f16 v28, v97, v106
	v_dual_dot2acc_f32_f16 v19, v95, v106 :: v_dual_dot2acc_f32_f16 v68, v96, v91
	;; [unrolled: 1-line block ×10, first 2 shown]
	ds_load_b128 v[103:106], v83 offset:21760
	v_dot2acc_f32_f16 v21, v95, v94
	v_dot2acc_f32_f16 v55, v98, v92
	;; [unrolled: 1-line block ×3, first 2 shown]
	ds_load_b128 v[91:94], v82 offset:5376
	s_waitcnt lgkmcnt(2)
	v_dot2acc_f32_f16 v64, v89, v99
	v_dot2acc_f32_f16 v76, v87, v99
	v_dual_dot2acc_f32_f16 v77, v87, v100 :: v_dual_dot2acc_f32_f16 v42, v88, v101
	v_dual_dot2acc_f32_f16 v48, v87, v101 :: v_dual_dot2acc_f32_f16 v71, v88, v100
	;; [unrolled: 1-line block ×3, first 2 shown]
	v_dot2acc_f32_f16 v70, v88, v99
	v_dot2acc_f32_f16 v43, v88, v102
	v_dual_dot2acc_f32_f16 v65, v89, v100 :: v_dual_dot2acc_f32_f16 v32, v90, v102
	v_dot2acc_f32_f16 v41, v89, v102
	v_dot2acc_f32_f16 v57, v90, v99
	s_waitcnt lgkmcnt(1)
	v_dual_dot2acc_f32_f16 v59, v90, v100 :: v_dual_dot2acc_f32_f16 v44, v88, v105
	v_dual_dot2acc_f32_f16 v31, v90, v101 :: v_dual_dot2acc_f32_f16 v40, v89, v106
	;; [unrolled: 1-line block ×3, first 2 shown]
	v_dot2acc_f32_f16 v80, v87, v104
	v_dot2acc_f32_f16 v46, v87, v105
	s_waitcnt lgkmcnt(0)
	v_dual_dot2acc_f32_f16 v47, v87, v106 :: v_dual_dot2acc_f32_f16 v60, v92, v99
	v_dual_dot2acc_f32_f16 v79, v88, v103 :: v_dual_dot2acc_f32_f16 v18, v91, v101
	v_dot2acc_f32_f16 v78, v88, v104
	v_dual_dot2acc_f32_f16 v45, v88, v106 :: v_dual_dot2acc_f32_f16 v62, v91, v99
	v_dual_dot2acc_f32_f16 v75, v89, v103 :: v_dual_dot2acc_f32_f16 v56, v92, v100
	;; [unrolled: 1-line block ×7, first 2 shown]
	ds_load_b128 v[87:90], v82 offset:5632
	v_dual_dot2acc_f32_f16 v63, v91, v100 :: v_dual_dot2acc_f32_f16 v28, v93, v102
	v_dual_dot2acc_f32_f16 v19, v91, v102 :: v_dual_dot2acc_f32_f16 v68, v92, v103
	v_dual_dot2acc_f32_f16 v23, v92, v101 :: v_dual_dot2acc_f32_f16 v72, v91, v104
	v_dual_dot2acc_f32_f16 v25, v92, v102 :: v_dual_dot2acc_f32_f16 v20, v91, v105
	v_dual_dot2acc_f32_f16 v27, v93, v101 :: v_dual_dot2acc_f32_f16 v66, v92, v104
	v_dual_dot2acc_f32_f16 v51, v94, v99 :: v_dual_dot2acc_f32_f16 v22, v92, v105
	ds_load_b128 v[95:98], v83 offset:22016
	v_dual_dot2acc_f32_f16 v35, v94, v102 :: v_dual_dot2acc_f32_f16 v58, v93, v104
	v_dual_dot2acc_f32_f16 v24, v92, v106 :: v_dual_dot2acc_f32_f16 v61, v93, v103
	;; [unrolled: 1-line block ×4, first 2 shown]
	ds_load_b128 v[99:102], v83 offset:22272
	v_dot2acc_f32_f16 v21, v91, v106
	v_dot2acc_f32_f16 v55, v94, v104
	;; [unrolled: 1-line block ×3, first 2 shown]
	ds_load_b128 v[91:94], v82 offset:5888
	ds_load_b128 v[103:106], v83 offset:22528
	v_cndmask_b32_e64 v14, 0, v14, s0
	v_cndmask_b32_e64 v6, 0, v6, s7
	;; [unrolled: 1-line block ×4, first 2 shown]
	s_waitcnt vmcnt(0)
	v_cndmask_b32_e64 v3, 0, v3, s5
	s_waitcnt lgkmcnt(3)
	v_dot2acc_f32_f16 v76, v87, v95
	v_dual_dot2acc_f32_f16 v77, v87, v96 :: v_dual_dot2acc_f32_f16 v42, v88, v97
	v_dual_dot2acc_f32_f16 v48, v87, v97 :: v_dual_dot2acc_f32_f16 v71, v88, v96
	v_dual_dot2acc_f32_f16 v49, v87, v98 :: v_dual_dot2acc_f32_f16 v38, v89, v97
	v_dot2acc_f32_f16 v70, v88, v95
	s_waitcnt lgkmcnt(2)
	v_dual_dot2acc_f32_f16 v43, v88, v98 :: v_dual_dot2acc_f32_f16 v80, v87, v100
	v_dot2acc_f32_f16 v64, v89, v95
	v_dual_dot2acc_f32_f16 v65, v89, v96 :: v_dual_dot2acc_f32_f16 v32, v90, v98
	v_dual_dot2acc_f32_f16 v41, v89, v98 :: v_dual_dot2acc_f32_f16 v46, v87, v101
	;; [unrolled: 1-line block ×6, first 2 shown]
	s_waitcnt lgkmcnt(1)
	v_dual_dot2acc_f32_f16 v47, v87, v102 :: v_dual_dot2acc_f32_f16 v60, v92, v95
	v_dual_dot2acc_f32_f16 v79, v88, v99 :: v_dual_dot2acc_f32_f16 v18, v91, v97
	;; [unrolled: 1-line block ×9, first 2 shown]
	ds_load_b128 v[87:90], v82 offset:6144
	v_dual_dot2acc_f32_f16 v63, v91, v96 :: v_dual_dot2acc_f32_f16 v28, v93, v98
	v_dual_dot2acc_f32_f16 v19, v91, v98 :: v_dual_dot2acc_f32_f16 v68, v92, v99
	;; [unrolled: 1-line block ×10, first 2 shown]
	ds_load_b128 v[95:98], v83 offset:22784
	v_dot2acc_f32_f16 v21, v91, v102
	v_dot2acc_f32_f16 v55, v94, v100
	;; [unrolled: 1-line block ×3, first 2 shown]
	ds_load_b128 v[91:94], v82 offset:6400
	s_waitcnt lgkmcnt(2)
	v_dot2acc_f32_f16 v64, v89, v103
	v_dot2acc_f32_f16 v76, v87, v103
	v_dual_dot2acc_f32_f16 v77, v87, v104 :: v_dual_dot2acc_f32_f16 v42, v88, v105
	v_dual_dot2acc_f32_f16 v48, v87, v105 :: v_dual_dot2acc_f32_f16 v71, v88, v104
	;; [unrolled: 1-line block ×3, first 2 shown]
	v_dot2acc_f32_f16 v70, v88, v103
	v_dot2acc_f32_f16 v43, v88, v106
	v_dual_dot2acc_f32_f16 v65, v89, v104 :: v_dual_dot2acc_f32_f16 v32, v90, v106
	v_dot2acc_f32_f16 v41, v89, v106
	v_dot2acc_f32_f16 v57, v90, v103
	s_waitcnt lgkmcnt(1)
	v_dual_dot2acc_f32_f16 v59, v90, v104 :: v_dual_dot2acc_f32_f16 v44, v88, v97
	v_dual_dot2acc_f32_f16 v31, v90, v105 :: v_dual_dot2acc_f32_f16 v40, v89, v98
	v_dual_dot2acc_f32_f16 v81, v87, v95 :: v_dual_dot2acc_f32_f16 v36, v90, v97
	v_dot2acc_f32_f16 v80, v87, v96
	v_dot2acc_f32_f16 v46, v87, v97
	s_waitcnt lgkmcnt(0)
	v_dual_dot2acc_f32_f16 v47, v87, v98 :: v_dual_dot2acc_f32_f16 v60, v92, v103
	v_dual_dot2acc_f32_f16 v79, v88, v95 :: v_dual_dot2acc_f32_f16 v18, v91, v105
	v_dot2acc_f32_f16 v78, v88, v96
	v_dual_dot2acc_f32_f16 v45, v88, v98 :: v_dual_dot2acc_f32_f16 v62, v91, v103
	v_dual_dot2acc_f32_f16 v75, v89, v95 :: v_dual_dot2acc_f32_f16 v56, v92, v104
	;; [unrolled: 1-line block ×7, first 2 shown]
	ds_load_b128 v[87:90], v82 offset:6656
	v_dual_dot2acc_f32_f16 v63, v91, v104 :: v_dual_dot2acc_f32_f16 v28, v93, v106
	v_dual_dot2acc_f32_f16 v19, v91, v106 :: v_dual_dot2acc_f32_f16 v68, v92, v95
	;; [unrolled: 1-line block ×6, first 2 shown]
	ds_load_b128 v[99:102], v83 offset:23040
	v_dual_dot2acc_f32_f16 v35, v94, v106 :: v_dual_dot2acc_f32_f16 v58, v93, v96
	v_dual_dot2acc_f32_f16 v24, v92, v98 :: v_dual_dot2acc_f32_f16 v61, v93, v95
	;; [unrolled: 1-line block ×4, first 2 shown]
	ds_load_b128 v[103:106], v83 offset:23296
	v_dot2acc_f32_f16 v21, v91, v98
	v_dot2acc_f32_f16 v55, v94, v96
	;; [unrolled: 1-line block ×3, first 2 shown]
	ds_load_b128 v[91:94], v82 offset:6912
	ds_load_b128 v[95:98], v83 offset:23552
	v_cndmask_b32_e64 v2, 0, v2, s5
	v_cndmask_b32_e64 v1, 0, v1, s5
	;; [unrolled: 1-line block ×3, first 2 shown]
	v_add_nc_u32_e32 v16, s30, v85
	s_lshl_b32 s30, s41, 1
	s_waitcnt lgkmcnt(3)
	v_dot2acc_f32_f16 v76, v87, v99
	v_dual_dot2acc_f32_f16 v77, v87, v100 :: v_dual_dot2acc_f32_f16 v42, v88, v101
	v_dual_dot2acc_f32_f16 v48, v87, v101 :: v_dual_dot2acc_f32_f16 v71, v88, v100
	;; [unrolled: 1-line block ×3, first 2 shown]
	v_dot2acc_f32_f16 v70, v88, v99
	s_waitcnt lgkmcnt(2)
	v_dual_dot2acc_f32_f16 v43, v88, v102 :: v_dual_dot2acc_f32_f16 v80, v87, v104
	v_dot2acc_f32_f16 v64, v89, v99
	v_dual_dot2acc_f32_f16 v65, v89, v100 :: v_dual_dot2acc_f32_f16 v32, v90, v102
	v_dual_dot2acc_f32_f16 v41, v89, v102 :: v_dual_dot2acc_f32_f16 v46, v87, v105
	;; [unrolled: 1-line block ×6, first 2 shown]
	s_waitcnt lgkmcnt(1)
	v_dual_dot2acc_f32_f16 v47, v87, v106 :: v_dual_dot2acc_f32_f16 v60, v92, v99
	v_dual_dot2acc_f32_f16 v79, v88, v103 :: v_dual_dot2acc_f32_f16 v18, v91, v101
	;; [unrolled: 1-line block ×9, first 2 shown]
	ds_load_b128 v[87:90], v82 offset:7168
	v_dual_dot2acc_f32_f16 v63, v91, v100 :: v_dual_dot2acc_f32_f16 v28, v93, v102
	v_dual_dot2acc_f32_f16 v19, v91, v102 :: v_dual_dot2acc_f32_f16 v68, v92, v103
	;; [unrolled: 1-line block ×10, first 2 shown]
	ds_load_b128 v[99:102], v83 offset:23808
	v_dot2acc_f32_f16 v21, v91, v106
	v_dot2acc_f32_f16 v55, v94, v104
	;; [unrolled: 1-line block ×3, first 2 shown]
	ds_load_b128 v[91:94], v82 offset:7424
	s_waitcnt lgkmcnt(2)
	v_dot2acc_f32_f16 v64, v89, v95
	v_dot2acc_f32_f16 v76, v87, v95
	v_dual_dot2acc_f32_f16 v77, v87, v96 :: v_dual_dot2acc_f32_f16 v42, v88, v97
	v_dual_dot2acc_f32_f16 v48, v87, v97 :: v_dual_dot2acc_f32_f16 v71, v88, v96
	;; [unrolled: 1-line block ×3, first 2 shown]
	v_dot2acc_f32_f16 v70, v88, v95
	v_dot2acc_f32_f16 v43, v88, v98
	v_dual_dot2acc_f32_f16 v65, v89, v96 :: v_dual_dot2acc_f32_f16 v32, v90, v98
	v_dot2acc_f32_f16 v41, v89, v98
	v_dot2acc_f32_f16 v57, v90, v95
	s_waitcnt lgkmcnt(1)
	v_dual_dot2acc_f32_f16 v59, v90, v96 :: v_dual_dot2acc_f32_f16 v44, v88, v101
	v_dual_dot2acc_f32_f16 v31, v90, v97 :: v_dual_dot2acc_f32_f16 v40, v89, v102
	;; [unrolled: 1-line block ×3, first 2 shown]
	v_dot2acc_f32_f16 v80, v87, v100
	v_dot2acc_f32_f16 v46, v87, v101
	s_waitcnt lgkmcnt(0)
	v_dual_dot2acc_f32_f16 v47, v87, v102 :: v_dual_dot2acc_f32_f16 v60, v92, v95
	v_dual_dot2acc_f32_f16 v79, v88, v99 :: v_dual_dot2acc_f32_f16 v18, v91, v97
	v_dot2acc_f32_f16 v78, v88, v100
	v_dual_dot2acc_f32_f16 v45, v88, v102 :: v_dual_dot2acc_f32_f16 v62, v91, v95
	v_dual_dot2acc_f32_f16 v75, v89, v99 :: v_dual_dot2acc_f32_f16 v56, v92, v96
	;; [unrolled: 1-line block ×7, first 2 shown]
	ds_load_b128 v[87:90], v82 offset:7680
	v_dual_dot2acc_f32_f16 v63, v91, v96 :: v_dual_dot2acc_f32_f16 v28, v93, v98
	v_dual_dot2acc_f32_f16 v19, v91, v98 :: v_dual_dot2acc_f32_f16 v68, v92, v99
	;; [unrolled: 1-line block ×6, first 2 shown]
	ds_load_b128 v[103:106], v83 offset:24064
	v_dual_dot2acc_f32_f16 v35, v94, v98 :: v_dual_dot2acc_f32_f16 v58, v93, v100
	v_dual_dot2acc_f32_f16 v24, v92, v102 :: v_dual_dot2acc_f32_f16 v61, v93, v99
	;; [unrolled: 1-line block ×4, first 2 shown]
	ds_load_b128 v[95:98], v83 offset:24320
	v_dot2acc_f32_f16 v21, v91, v102
	v_dot2acc_f32_f16 v55, v94, v100
	;; [unrolled: 1-line block ×3, first 2 shown]
	ds_load_b128 v[91:94], v82 offset:7936
	ds_store_2addr_stride64_b32 v86, v12, v13 offset0:32 offset1:34
	ds_store_2addr_stride64_b32 v86, v14, v15 offset0:36 offset1:38
	;; [unrolled: 1-line block ×8, first 2 shown]
	s_waitcnt lgkmcnt(0)
	s_barrier
	ds_load_b128 v[0:3], v82 offset:8192
	ds_load_b128 v[4:7], v83 offset:24576
	;; [unrolled: 1-line block ×4, first 2 shown]
	v_dot2acc_f32_f16 v76, v87, v103
	v_dual_dot2acc_f32_f16 v77, v87, v104 :: v_dual_dot2acc_f32_f16 v42, v88, v105
	v_dual_dot2acc_f32_f16 v48, v87, v105 :: v_dual_dot2acc_f32_f16 v71, v88, v104
	;; [unrolled: 1-line block ×3, first 2 shown]
	v_dot2acc_f32_f16 v70, v88, v103
	v_dual_dot2acc_f32_f16 v43, v88, v106 :: v_dual_dot2acc_f32_f16 v80, v87, v96
	v_dot2acc_f32_f16 v64, v89, v103
	v_dual_dot2acc_f32_f16 v65, v89, v104 :: v_dual_dot2acc_f32_f16 v32, v90, v106
	v_dual_dot2acc_f32_f16 v41, v89, v106 :: v_dual_dot2acc_f32_f16 v46, v87, v97
	;; [unrolled: 1-line block ×22, first 2 shown]
	s_waitcnt lgkmcnt(2)
	v_dual_dot2acc_f32_f16 v21, v91, v98 :: v_dual_dot2acc_f32_f16 v76, v0, v4
	v_dual_dot2acc_f32_f16 v24, v92, v98 :: v_dual_dot2acc_f32_f16 v61, v93, v95
	;; [unrolled: 1-line block ×10, first 2 shown]
	ds_load_b128 v[86:89], v83 offset:25088
	s_waitcnt lgkmcnt(2)
	v_dual_dot2acc_f32_f16 v43, v1, v7 :: v_dual_dot2acc_f32_f16 v80, v0, v9
	v_dual_dot2acc_f32_f16 v41, v2, v7 :: v_dual_dot2acc_f32_f16 v46, v0, v10
	;; [unrolled: 1-line block ×6, first 2 shown]
	v_dot2acc_f32_f16 v47, v0, v11
	v_dot2acc_f32_f16 v79, v1, v8
	;; [unrolled: 1-line block ×9, first 2 shown]
	ds_load_b128 v[0:3], v82 offset:8704
	s_waitcnt lgkmcnt(2)
	v_dot2acc_f32_f16 v74, v12, v8
	v_dot2acc_f32_f16 v62, v12, v4
	v_dual_dot2acc_f32_f16 v63, v12, v5 :: v_dual_dot2acc_f32_f16 v28, v14, v7
	v_dot2acc_f32_f16 v18, v12, v6
	v_dual_dot2acc_f32_f16 v19, v12, v7 :: v_dual_dot2acc_f32_f16 v68, v13, v8
	v_dot2acc_f32_f16 v60, v13, v4
	v_dot2acc_f32_f16 v56, v13, v5
	v_dual_dot2acc_f32_f16 v23, v13, v6 :: v_dual_dot2acc_f32_f16 v72, v12, v9
	v_dual_dot2acc_f32_f16 v25, v13, v7 :: v_dual_dot2acc_f32_f16 v20, v12, v10
	v_dot2acc_f32_f16 v52, v14, v4
	v_dot2acc_f32_f16 v54, v14, v5
	v_dual_dot2acc_f32_f16 v27, v14, v6 :: v_dual_dot2acc_f32_f16 v66, v13, v9
	;; [unrolled: 4-line block ×3, first 2 shown]
	s_waitcnt lgkmcnt(0)
	v_dual_dot2acc_f32_f16 v21, v12, v11 :: v_dual_dot2acc_f32_f16 v70, v1, v86
	v_dual_dot2acc_f32_f16 v24, v13, v11 :: v_dual_dot2acc_f32_f16 v61, v14, v8
	v_dual_dot2acc_f32_f16 v29, v14, v10 :: v_dual_dot2acc_f32_f16 v26, v15, v11
	v_dual_dot2acc_f32_f16 v30, v14, v11 :: v_dual_dot2acc_f32_f16 v53, v15, v8
	v_dual_dot2acc_f32_f16 v55, v15, v9 :: v_dual_dot2acc_f32_f16 v76, v0, v86
	ds_load_b128 v[4:7], v83 offset:25344
	v_dual_dot2acc_f32_f16 v33, v15, v10 :: v_dual_dot2acc_f32_f16 v48, v0, v88
	ds_load_b128 v[8:11], v82 offset:8960
	v_dual_dot2acc_f32_f16 v77, v0, v87 :: v_dual_dot2acc_f32_f16 v42, v1, v88
	v_dual_dot2acc_f32_f16 v49, v0, v89 :: v_dual_dot2acc_f32_f16 v64, v2, v86
	;; [unrolled: 1-line block ×4, first 2 shown]
	ds_load_b128 v[12:15], v83 offset:25600
	v_dot2acc_f32_f16 v43, v1, v89
	v_dot2acc_f32_f16 v41, v2, v89
	;; [unrolled: 1-line block ×5, first 2 shown]
	ds_load_b128 v[90:93], v82 offset:13568
	v_mul_lo_u32 v85, v16, s14
	s_waitcnt lgkmcnt(3)
	v_dual_dot2acc_f32_f16 v81, v0, v4 :: v_dual_dot2acc_f32_f16 v36, v3, v6
	v_dot2acc_f32_f16 v80, v0, v5
	v_dot2acc_f32_f16 v46, v0, v6
	;; [unrolled: 1-line block ×10, first 2 shown]
	v_dual_dot2acc_f32_f16 v40, v2, v7 :: v_dual_dot2acc_f32_f16 v69, v3, v4
	v_dot2acc_f32_f16 v67, v3, v5
	v_dot2acc_f32_f16 v37, v3, v7
	ds_load_b128 v[0:3], v82 offset:9216
	s_waitcnt lgkmcnt(3)
	v_dot2acc_f32_f16 v28, v10, v89
	v_dot2acc_f32_f16 v62, v8, v86
	v_dual_dot2acc_f32_f16 v63, v8, v87 :: v_dual_dot2acc_f32_f16 v68, v9, v4
	v_dot2acc_f32_f16 v18, v8, v88
	v_dual_dot2acc_f32_f16 v19, v8, v89 :: v_dual_dot2acc_f32_f16 v22, v9, v6
	v_dot2acc_f32_f16 v60, v9, v86
	v_dot2acc_f32_f16 v56, v9, v87
	v_dual_dot2acc_f32_f16 v23, v9, v88 :: v_dual_dot2acc_f32_f16 v72, v8, v5
	v_dual_dot2acc_f32_f16 v25, v9, v89 :: v_dual_dot2acc_f32_f16 v74, v8, v4
	v_dot2acc_f32_f16 v52, v10, v86
	v_dot2acc_f32_f16 v54, v10, v87
	v_dual_dot2acc_f32_f16 v27, v10, v88 :: v_dual_dot2acc_f32_f16 v20, v8, v6
	;; [unrolled: 4-line block ×3, first 2 shown]
	v_dual_dot2acc_f32_f16 v21, v8, v7 :: v_dual_dot2acc_f32_f16 v58, v10, v5
	v_dual_dot2acc_f32_f16 v61, v10, v4 :: v_dual_dot2acc_f32_f16 v26, v11, v7
	s_waitcnt lgkmcnt(0)
	v_dual_dot2acc_f32_f16 v29, v10, v6 :: v_dual_dot2acc_f32_f16 v76, v0, v12
	v_dual_dot2acc_f32_f16 v30, v10, v7 :: v_dual_dot2acc_f32_f16 v53, v11, v4
	;; [unrolled: 1-line block ×3, first 2 shown]
	ds_load_b128 v[86:89], v83 offset:25856
	v_dual_dot2acc_f32_f16 v33, v11, v6 :: v_dual_dot2acc_f32_f16 v70, v1, v12
	ds_load_b128 v[4:7], v82 offset:9472
	v_dual_dot2acc_f32_f16 v77, v0, v13 :: v_dual_dot2acc_f32_f16 v42, v1, v14
	v_dual_dot2acc_f32_f16 v49, v0, v15 :: v_dual_dot2acc_f32_f16 v64, v2, v12
	;; [unrolled: 1-line block ×4, first 2 shown]
	ds_load_b128 v[8:11], v83 offset:26112
	v_dot2acc_f32_f16 v43, v1, v15
	v_dot2acc_f32_f16 v41, v2, v15
	;; [unrolled: 1-line block ×5, first 2 shown]
	s_lshl_b32 s0, s15, 6
	s_add_i32 s4, s35, s34
	s_waitcnt lgkmcnt(2)
	v_dual_dot2acc_f32_f16 v40, v2, v89 :: v_dual_dot2acc_f32_f16 v81, v0, v86
	v_dot2acc_f32_f16 v36, v3, v88
	v_dot2acc_f32_f16 v80, v0, v87
	v_dot2acc_f32_f16 v46, v0, v88
	v_dot2acc_f32_f16 v47, v0, v89
	v_dot2acc_f32_f16 v79, v1, v86
	v_dot2acc_f32_f16 v78, v1, v87
	v_dot2acc_f32_f16 v44, v1, v88
	v_dot2acc_f32_f16 v45, v1, v89
	v_dot2acc_f32_f16 v75, v2, v86
	v_dot2acc_f32_f16 v73, v2, v87
	v_dot2acc_f32_f16 v39, v2, v88
	v_dot2acc_f32_f16 v69, v3, v86
	v_dot2acc_f32_f16 v67, v3, v87
	v_dot2acc_f32_f16 v37, v3, v89
	ds_load_b128 v[0:3], v82 offset:9728
	s_waitcnt lgkmcnt(2)
	v_dot2acc_f32_f16 v28, v6, v15
	v_dot2acc_f32_f16 v62, v4, v12
	v_dual_dot2acc_f32_f16 v63, v4, v13 :: v_dual_dot2acc_f32_f16 v68, v5, v86
	v_dot2acc_f32_f16 v18, v4, v14
	v_dual_dot2acc_f32_f16 v19, v4, v15 :: v_dual_dot2acc_f32_f16 v22, v5, v88
	v_dot2acc_f32_f16 v60, v5, v12
	v_dot2acc_f32_f16 v56, v5, v13
	v_dual_dot2acc_f32_f16 v23, v5, v14 :: v_dual_dot2acc_f32_f16 v72, v4, v87
	v_dual_dot2acc_f32_f16 v25, v5, v15 :: v_dual_dot2acc_f32_f16 v74, v4, v86
	v_dot2acc_f32_f16 v52, v6, v12
	v_dot2acc_f32_f16 v54, v6, v13
	v_dual_dot2acc_f32_f16 v27, v6, v14 :: v_dual_dot2acc_f32_f16 v20, v4, v88
	;; [unrolled: 4-line block ×3, first 2 shown]
	v_dual_dot2acc_f32_f16 v21, v4, v89 :: v_dual_dot2acc_f32_f16 v58, v6, v87
	v_dual_dot2acc_f32_f16 v61, v6, v86 :: v_dual_dot2acc_f32_f16 v26, v7, v89
	s_waitcnt lgkmcnt(0)
	v_dual_dot2acc_f32_f16 v29, v6, v88 :: v_dual_dot2acc_f32_f16 v48, v0, v10
	v_dual_dot2acc_f32_f16 v30, v6, v89 :: v_dual_dot2acc_f32_f16 v53, v7, v86
	;; [unrolled: 1-line block ×3, first 2 shown]
	ds_load_b128 v[12:15], v83 offset:26368
	v_dual_dot2acc_f32_f16 v33, v7, v88 :: v_dual_dot2acc_f32_f16 v42, v1, v10
	ds_load_b128 v[4:7], v82 offset:9984
	v_dual_dot2acc_f32_f16 v77, v0, v9 :: v_dual_dot2acc_f32_f16 v70, v1, v8
	v_dual_dot2acc_f32_f16 v49, v0, v11 :: v_dual_dot2acc_f32_f16 v64, v2, v8
	;; [unrolled: 1-line block ×4, first 2 shown]
	ds_load_b128 v[86:89], v83 offset:26624
	v_dot2acc_f32_f16 v43, v1, v11
	v_dot2acc_f32_f16 v41, v2, v11
	;; [unrolled: 1-line block ×4, first 2 shown]
	s_waitcnt lgkmcnt(2)
	v_dual_dot2acc_f32_f16 v31, v3, v10 :: v_dual_dot2acc_f32_f16 v40, v2, v15
	v_dual_dot2acc_f32_f16 v81, v0, v12 :: v_dual_dot2acc_f32_f16 v36, v3, v14
	v_dot2acc_f32_f16 v80, v0, v13
	v_dot2acc_f32_f16 v46, v0, v14
	;; [unrolled: 1-line block ×13, first 2 shown]
	ds_load_b128 v[0:3], v82 offset:10240
	s_waitcnt lgkmcnt(2)
	v_dot2acc_f32_f16 v74, v4, v12
	v_dot2acc_f32_f16 v62, v4, v8
	v_dual_dot2acc_f32_f16 v63, v4, v9 :: v_dual_dot2acc_f32_f16 v28, v6, v11
	v_dot2acc_f32_f16 v18, v4, v10
	v_dual_dot2acc_f32_f16 v19, v4, v11 :: v_dual_dot2acc_f32_f16 v68, v5, v12
	v_dot2acc_f32_f16 v60, v5, v8
	v_dot2acc_f32_f16 v56, v5, v9
	v_dual_dot2acc_f32_f16 v23, v5, v10 :: v_dual_dot2acc_f32_f16 v72, v4, v13
	v_dual_dot2acc_f32_f16 v25, v5, v11 :: v_dual_dot2acc_f32_f16 v20, v4, v14
	v_dot2acc_f32_f16 v52, v6, v8
	v_dot2acc_f32_f16 v54, v6, v9
	v_dual_dot2acc_f32_f16 v27, v6, v10 :: v_dual_dot2acc_f32_f16 v66, v5, v13
	;; [unrolled: 4-line block ×3, first 2 shown]
	s_waitcnt lgkmcnt(0)
	v_dual_dot2acc_f32_f16 v21, v4, v15 :: v_dual_dot2acc_f32_f16 v70, v1, v86
	v_dual_dot2acc_f32_f16 v24, v5, v15 :: v_dual_dot2acc_f32_f16 v61, v6, v12
	;; [unrolled: 1-line block ×5, first 2 shown]
	ds_load_b128 v[8:11], v83 offset:26880
	v_dual_dot2acc_f32_f16 v33, v7, v14 :: v_dual_dot2acc_f32_f16 v48, v0, v88
	ds_load_b128 v[4:7], v82 offset:10496
	v_dual_dot2acc_f32_f16 v77, v0, v87 :: v_dual_dot2acc_f32_f16 v42, v1, v88
	v_dual_dot2acc_f32_f16 v49, v0, v89 :: v_dual_dot2acc_f32_f16 v64, v2, v86
	;; [unrolled: 1-line block ×4, first 2 shown]
	ds_load_b128 v[12:15], v83 offset:27136
	v_dot2acc_f32_f16 v43, v1, v89
	v_dot2acc_f32_f16 v41, v2, v89
	;; [unrolled: 1-line block ×4, first 2 shown]
	s_waitcnt lgkmcnt(2)
	v_dual_dot2acc_f32_f16 v31, v3, v88 :: v_dual_dot2acc_f32_f16 v40, v2, v11
	v_dual_dot2acc_f32_f16 v81, v0, v8 :: v_dual_dot2acc_f32_f16 v36, v3, v10
	v_dot2acc_f32_f16 v80, v0, v9
	v_dot2acc_f32_f16 v46, v0, v10
	;; [unrolled: 1-line block ×13, first 2 shown]
	ds_load_b128 v[0:3], v82 offset:10752
	s_waitcnt lgkmcnt(2)
	v_dot2acc_f32_f16 v28, v6, v89
	v_dot2acc_f32_f16 v62, v4, v86
	v_dual_dot2acc_f32_f16 v63, v4, v87 :: v_dual_dot2acc_f32_f16 v68, v5, v8
	v_dot2acc_f32_f16 v18, v4, v88
	v_dual_dot2acc_f32_f16 v19, v4, v89 :: v_dual_dot2acc_f32_f16 v22, v5, v10
	v_dot2acc_f32_f16 v60, v5, v86
	v_dot2acc_f32_f16 v56, v5, v87
	v_dual_dot2acc_f32_f16 v23, v5, v88 :: v_dual_dot2acc_f32_f16 v72, v4, v9
	v_dual_dot2acc_f32_f16 v25, v5, v89 :: v_dual_dot2acc_f32_f16 v74, v4, v8
	v_dot2acc_f32_f16 v52, v6, v86
	v_dot2acc_f32_f16 v54, v6, v87
	v_dual_dot2acc_f32_f16 v27, v6, v88 :: v_dual_dot2acc_f32_f16 v20, v4, v10
	;; [unrolled: 4-line block ×3, first 2 shown]
	v_dual_dot2acc_f32_f16 v21, v4, v11 :: v_dual_dot2acc_f32_f16 v58, v6, v9
	v_dual_dot2acc_f32_f16 v61, v6, v8 :: v_dual_dot2acc_f32_f16 v26, v7, v11
	s_waitcnt lgkmcnt(0)
	v_dual_dot2acc_f32_f16 v29, v6, v10 :: v_dual_dot2acc_f32_f16 v76, v0, v12
	v_dual_dot2acc_f32_f16 v30, v6, v11 :: v_dual_dot2acc_f32_f16 v53, v7, v8
	;; [unrolled: 1-line block ×3, first 2 shown]
	ds_load_b128 v[86:89], v83 offset:27392
	v_dual_dot2acc_f32_f16 v33, v7, v10 :: v_dual_dot2acc_f32_f16 v70, v1, v12
	ds_load_b128 v[4:7], v82 offset:11008
	v_dual_dot2acc_f32_f16 v77, v0, v13 :: v_dual_dot2acc_f32_f16 v42, v1, v14
	v_dual_dot2acc_f32_f16 v49, v0, v15 :: v_dual_dot2acc_f32_f16 v64, v2, v12
	;; [unrolled: 1-line block ×4, first 2 shown]
	ds_load_b128 v[8:11], v83 offset:27648
	v_dot2acc_f32_f16 v43, v1, v15
	v_dot2acc_f32_f16 v41, v2, v15
	;; [unrolled: 1-line block ×4, first 2 shown]
	s_waitcnt lgkmcnt(2)
	v_dual_dot2acc_f32_f16 v31, v3, v14 :: v_dual_dot2acc_f32_f16 v40, v2, v89
	v_dual_dot2acc_f32_f16 v81, v0, v86 :: v_dual_dot2acc_f32_f16 v36, v3, v88
	v_dot2acc_f32_f16 v80, v0, v87
	v_dot2acc_f32_f16 v46, v0, v88
	;; [unrolled: 1-line block ×13, first 2 shown]
	ds_load_b128 v[0:3], v82 offset:11264
	s_waitcnt lgkmcnt(2)
	v_dot2acc_f32_f16 v28, v6, v15
	v_dot2acc_f32_f16 v62, v4, v12
	v_dual_dot2acc_f32_f16 v63, v4, v13 :: v_dual_dot2acc_f32_f16 v68, v5, v86
	v_dot2acc_f32_f16 v18, v4, v14
	v_dual_dot2acc_f32_f16 v19, v4, v15 :: v_dual_dot2acc_f32_f16 v22, v5, v88
	v_dot2acc_f32_f16 v60, v5, v12
	v_dot2acc_f32_f16 v56, v5, v13
	v_dual_dot2acc_f32_f16 v23, v5, v14 :: v_dual_dot2acc_f32_f16 v72, v4, v87
	v_dual_dot2acc_f32_f16 v25, v5, v15 :: v_dual_dot2acc_f32_f16 v74, v4, v86
	v_dot2acc_f32_f16 v52, v6, v12
	v_dot2acc_f32_f16 v54, v6, v13
	v_dual_dot2acc_f32_f16 v27, v6, v14 :: v_dual_dot2acc_f32_f16 v20, v4, v88
	;; [unrolled: 4-line block ×3, first 2 shown]
	v_dual_dot2acc_f32_f16 v21, v4, v89 :: v_dual_dot2acc_f32_f16 v58, v6, v87
	v_dual_dot2acc_f32_f16 v61, v6, v86 :: v_dual_dot2acc_f32_f16 v26, v7, v89
	s_waitcnt lgkmcnt(0)
	v_dual_dot2acc_f32_f16 v29, v6, v88 :: v_dual_dot2acc_f32_f16 v48, v0, v10
	v_dual_dot2acc_f32_f16 v30, v6, v89 :: v_dual_dot2acc_f32_f16 v53, v7, v86
	;; [unrolled: 1-line block ×3, first 2 shown]
	ds_load_b128 v[12:15], v83 offset:27904
	v_dual_dot2acc_f32_f16 v33, v7, v88 :: v_dual_dot2acc_f32_f16 v42, v1, v10
	ds_load_b128 v[4:7], v82 offset:11520
	v_dual_dot2acc_f32_f16 v77, v0, v9 :: v_dual_dot2acc_f32_f16 v70, v1, v8
	v_dual_dot2acc_f32_f16 v49, v0, v11 :: v_dual_dot2acc_f32_f16 v64, v2, v8
	;; [unrolled: 1-line block ×4, first 2 shown]
	ds_load_b128 v[86:89], v83 offset:28160
	v_dot2acc_f32_f16 v43, v1, v11
	v_dot2acc_f32_f16 v41, v2, v11
	;; [unrolled: 1-line block ×4, first 2 shown]
	s_waitcnt lgkmcnt(2)
	v_dual_dot2acc_f32_f16 v31, v3, v10 :: v_dual_dot2acc_f32_f16 v40, v2, v15
	v_dual_dot2acc_f32_f16 v81, v0, v12 :: v_dual_dot2acc_f32_f16 v36, v3, v14
	v_dot2acc_f32_f16 v80, v0, v13
	v_dot2acc_f32_f16 v46, v0, v14
	v_dot2acc_f32_f16 v47, v0, v15
	v_dot2acc_f32_f16 v79, v1, v12
	v_dot2acc_f32_f16 v78, v1, v13
	v_dot2acc_f32_f16 v44, v1, v14
	v_dot2acc_f32_f16 v45, v1, v15
	v_dot2acc_f32_f16 v75, v2, v12
	v_dot2acc_f32_f16 v73, v2, v13
	v_dot2acc_f32_f16 v39, v2, v14
	v_dot2acc_f32_f16 v69, v3, v12
	v_dot2acc_f32_f16 v67, v3, v13
	v_dot2acc_f32_f16 v37, v3, v15
	ds_load_b128 v[0:3], v82 offset:11776
	s_waitcnt lgkmcnt(2)
	v_dot2acc_f32_f16 v74, v4, v12
	v_dot2acc_f32_f16 v62, v4, v8
	v_dual_dot2acc_f32_f16 v63, v4, v9 :: v_dual_dot2acc_f32_f16 v28, v6, v11
	v_dot2acc_f32_f16 v18, v4, v10
	v_dual_dot2acc_f32_f16 v19, v4, v11 :: v_dual_dot2acc_f32_f16 v68, v5, v12
	v_dot2acc_f32_f16 v60, v5, v8
	v_dot2acc_f32_f16 v56, v5, v9
	v_dual_dot2acc_f32_f16 v23, v5, v10 :: v_dual_dot2acc_f32_f16 v72, v4, v13
	v_dual_dot2acc_f32_f16 v25, v5, v11 :: v_dual_dot2acc_f32_f16 v20, v4, v14
	v_dot2acc_f32_f16 v52, v6, v8
	v_dot2acc_f32_f16 v54, v6, v9
	v_dual_dot2acc_f32_f16 v27, v6, v10 :: v_dual_dot2acc_f32_f16 v66, v5, v13
	;; [unrolled: 4-line block ×3, first 2 shown]
	s_waitcnt lgkmcnt(0)
	v_dual_dot2acc_f32_f16 v21, v4, v15 :: v_dual_dot2acc_f32_f16 v70, v1, v86
	v_dual_dot2acc_f32_f16 v24, v5, v15 :: v_dual_dot2acc_f32_f16 v61, v6, v12
	;; [unrolled: 1-line block ×5, first 2 shown]
	ds_load_b128 v[8:11], v83 offset:28416
	v_dual_dot2acc_f32_f16 v33, v7, v14 :: v_dual_dot2acc_f32_f16 v48, v0, v88
	ds_load_b128 v[4:7], v82 offset:12032
	v_dual_dot2acc_f32_f16 v77, v0, v87 :: v_dual_dot2acc_f32_f16 v42, v1, v88
	v_dual_dot2acc_f32_f16 v49, v0, v89 :: v_dual_dot2acc_f32_f16 v64, v2, v86
	;; [unrolled: 1-line block ×4, first 2 shown]
	ds_load_b128 v[12:15], v83 offset:28672
	v_dot2acc_f32_f16 v43, v1, v89
	v_dot2acc_f32_f16 v41, v2, v89
	;; [unrolled: 1-line block ×4, first 2 shown]
	s_waitcnt lgkmcnt(2)
	v_dual_dot2acc_f32_f16 v31, v3, v88 :: v_dual_dot2acc_f32_f16 v40, v2, v11
	v_dual_dot2acc_f32_f16 v81, v0, v8 :: v_dual_dot2acc_f32_f16 v36, v3, v10
	v_dot2acc_f32_f16 v80, v0, v9
	v_dot2acc_f32_f16 v46, v0, v10
	;; [unrolled: 1-line block ×13, first 2 shown]
	ds_load_b128 v[0:3], v82 offset:12288
	s_waitcnt lgkmcnt(2)
	v_dot2acc_f32_f16 v28, v6, v89
	v_dot2acc_f32_f16 v62, v4, v86
	v_dual_dot2acc_f32_f16 v63, v4, v87 :: v_dual_dot2acc_f32_f16 v68, v5, v8
	v_dot2acc_f32_f16 v18, v4, v88
	v_dual_dot2acc_f32_f16 v19, v4, v89 :: v_dual_dot2acc_f32_f16 v22, v5, v10
	v_dot2acc_f32_f16 v60, v5, v86
	v_dot2acc_f32_f16 v56, v5, v87
	v_dual_dot2acc_f32_f16 v23, v5, v88 :: v_dual_dot2acc_f32_f16 v72, v4, v9
	v_dual_dot2acc_f32_f16 v25, v5, v89 :: v_dual_dot2acc_f32_f16 v74, v4, v8
	v_dot2acc_f32_f16 v52, v6, v86
	v_dot2acc_f32_f16 v54, v6, v87
	v_dual_dot2acc_f32_f16 v27, v6, v88 :: v_dual_dot2acc_f32_f16 v20, v4, v10
	;; [unrolled: 4-line block ×3, first 2 shown]
	v_dual_dot2acc_f32_f16 v21, v4, v11 :: v_dual_dot2acc_f32_f16 v58, v6, v9
	v_dual_dot2acc_f32_f16 v61, v6, v8 :: v_dual_dot2acc_f32_f16 v26, v7, v11
	s_waitcnt lgkmcnt(0)
	v_dual_dot2acc_f32_f16 v29, v6, v10 :: v_dual_dot2acc_f32_f16 v76, v0, v12
	v_dual_dot2acc_f32_f16 v30, v6, v11 :: v_dual_dot2acc_f32_f16 v53, v7, v8
	;; [unrolled: 1-line block ×3, first 2 shown]
	ds_load_b128 v[86:89], v83 offset:28928
	v_dual_dot2acc_f32_f16 v33, v7, v10 :: v_dual_dot2acc_f32_f16 v70, v1, v12
	ds_load_b128 v[4:7], v82 offset:12544
	v_dual_dot2acc_f32_f16 v77, v0, v13 :: v_dual_dot2acc_f32_f16 v42, v1, v14
	v_dual_dot2acc_f32_f16 v49, v0, v15 :: v_dual_dot2acc_f32_f16 v64, v2, v12
	;; [unrolled: 1-line block ×4, first 2 shown]
	ds_load_b128 v[8:11], v83 offset:29184
	v_dot2acc_f32_f16 v43, v1, v15
	v_dot2acc_f32_f16 v41, v2, v15
	v_dot2acc_f32_f16 v57, v3, v12
	v_dot2acc_f32_f16 v59, v3, v13
	s_waitcnt lgkmcnt(2)
	v_dual_dot2acc_f32_f16 v31, v3, v14 :: v_dual_dot2acc_f32_f16 v40, v2, v89
	v_dual_dot2acc_f32_f16 v81, v0, v86 :: v_dual_dot2acc_f32_f16 v36, v3, v88
	v_dot2acc_f32_f16 v80, v0, v87
	v_dot2acc_f32_f16 v46, v0, v88
	;; [unrolled: 1-line block ×13, first 2 shown]
	ds_load_b128 v[0:3], v82 offset:12800
	s_waitcnt lgkmcnt(2)
	v_dot2acc_f32_f16 v28, v6, v15
	v_dot2acc_f32_f16 v62, v4, v12
	v_dual_dot2acc_f32_f16 v63, v4, v13 :: v_dual_dot2acc_f32_f16 v68, v5, v86
	v_dot2acc_f32_f16 v18, v4, v14
	v_dual_dot2acc_f32_f16 v19, v4, v15 :: v_dual_dot2acc_f32_f16 v22, v5, v88
	v_dot2acc_f32_f16 v60, v5, v12
	v_dot2acc_f32_f16 v56, v5, v13
	v_dual_dot2acc_f32_f16 v23, v5, v14 :: v_dual_dot2acc_f32_f16 v72, v4, v87
	v_dual_dot2acc_f32_f16 v25, v5, v15 :: v_dual_dot2acc_f32_f16 v74, v4, v86
	v_dot2acc_f32_f16 v52, v6, v12
	v_dot2acc_f32_f16 v54, v6, v13
	v_dual_dot2acc_f32_f16 v27, v6, v14 :: v_dual_dot2acc_f32_f16 v20, v4, v88
	;; [unrolled: 4-line block ×3, first 2 shown]
	v_dual_dot2acc_f32_f16 v21, v4, v89 :: v_dual_dot2acc_f32_f16 v58, v6, v87
	v_dual_dot2acc_f32_f16 v61, v6, v86 :: v_dual_dot2acc_f32_f16 v26, v7, v89
	s_waitcnt lgkmcnt(0)
	v_dual_dot2acc_f32_f16 v29, v6, v88 :: v_dual_dot2acc_f32_f16 v48, v0, v10
	v_dual_dot2acc_f32_f16 v30, v6, v89 :: v_dual_dot2acc_f32_f16 v53, v7, v86
	;; [unrolled: 1-line block ×3, first 2 shown]
	ds_load_b128 v[12:15], v83 offset:29440
	v_dual_dot2acc_f32_f16 v33, v7, v88 :: v_dual_dot2acc_f32_f16 v42, v1, v10
	ds_load_b128 v[4:7], v82 offset:13056
	v_dual_dot2acc_f32_f16 v77, v0, v9 :: v_dual_dot2acc_f32_f16 v70, v1, v8
	v_dual_dot2acc_f32_f16 v49, v0, v11 :: v_dual_dot2acc_f32_f16 v64, v2, v8
	;; [unrolled: 1-line block ×4, first 2 shown]
	ds_load_b128 v[86:89], v83 offset:29696
	v_dot2acc_f32_f16 v43, v1, v11
	v_dot2acc_f32_f16 v41, v2, v11
	;; [unrolled: 1-line block ×4, first 2 shown]
	s_waitcnt lgkmcnt(2)
	v_dual_dot2acc_f32_f16 v31, v3, v10 :: v_dual_dot2acc_f32_f16 v40, v2, v15
	v_dual_dot2acc_f32_f16 v81, v0, v12 :: v_dual_dot2acc_f32_f16 v36, v3, v14
	v_dot2acc_f32_f16 v80, v0, v13
	v_dot2acc_f32_f16 v46, v0, v14
	v_dot2acc_f32_f16 v47, v0, v15
	v_dot2acc_f32_f16 v79, v1, v12
	v_dot2acc_f32_f16 v78, v1, v13
	v_dot2acc_f32_f16 v44, v1, v14
	v_dot2acc_f32_f16 v45, v1, v15
	v_dot2acc_f32_f16 v75, v2, v12
	v_dot2acc_f32_f16 v73, v2, v13
	v_dot2acc_f32_f16 v39, v2, v14
	v_dot2acc_f32_f16 v69, v3, v12
	v_dot2acc_f32_f16 v67, v3, v13
	v_dot2acc_f32_f16 v37, v3, v15
	ds_load_b128 v[0:3], v82 offset:13312
	s_waitcnt lgkmcnt(2)
	v_dot2acc_f32_f16 v74, v4, v12
	v_dot2acc_f32_f16 v62, v4, v8
	v_dual_dot2acc_f32_f16 v63, v4, v9 :: v_dual_dot2acc_f32_f16 v28, v6, v11
	v_dot2acc_f32_f16 v18, v4, v10
	v_dual_dot2acc_f32_f16 v19, v4, v11 :: v_dual_dot2acc_f32_f16 v68, v5, v12
	v_dot2acc_f32_f16 v60, v5, v8
	v_dot2acc_f32_f16 v56, v5, v9
	v_dual_dot2acc_f32_f16 v23, v5, v10 :: v_dual_dot2acc_f32_f16 v72, v4, v13
	v_dual_dot2acc_f32_f16 v25, v5, v11 :: v_dual_dot2acc_f32_f16 v20, v4, v14
	v_dot2acc_f32_f16 v52, v6, v8
	v_dot2acc_f32_f16 v54, v6, v9
	v_dual_dot2acc_f32_f16 v27, v6, v10 :: v_dual_dot2acc_f32_f16 v66, v5, v13
	;; [unrolled: 4-line block ×3, first 2 shown]
	ds_load_b128 v[8:11], v83 offset:29952
	s_waitcnt lgkmcnt(1)
	v_dual_dot2acc_f32_f16 v21, v4, v15 :: v_dual_dot2acc_f32_f16 v70, v1, v86
	v_dual_dot2acc_f32_f16 v24, v5, v15 :: v_dual_dot2acc_f32_f16 v61, v6, v12
	;; [unrolled: 1-line block ×10, first 2 shown]
	ds_load_b128 v[12:15], v83 offset:30208
	s_waitcnt lgkmcnt(1)
	v_dual_dot2acc_f32_f16 v43, v1, v89 :: v_dual_dot2acc_f32_f16 v46, v0, v10
	v_dual_dot2acc_f32_f16 v41, v2, v89 :: v_dual_dot2acc_f32_f16 v44, v1, v10
	;; [unrolled: 1-line block ×6, first 2 shown]
	v_dot2acc_f32_f16 v47, v0, v11
	v_dot2acc_f32_f16 v79, v1, v8
	;; [unrolled: 1-line block ×9, first 2 shown]
	ds_load_b128 v[0:3], v82 offset:13824
	v_dot2acc_f32_f16 v34, v93, v88
	ds_load_b128 v[4:7], v83 offset:30464
	v_dual_dot2acc_f32_f16 v63, v90, v87 :: v_dual_dot2acc_f32_f16 v68, v91, v8
	v_dual_dot2acc_f32_f16 v19, v90, v89 :: v_dual_dot2acc_f32_f16 v22, v91, v10
	;; [unrolled: 1-line block ×9, first 2 shown]
	s_waitcnt lgkmcnt(1)
	v_dual_dot2acc_f32_f16 v29, v92, v10 :: v_dual_dot2acc_f32_f16 v70, v1, v12
	v_dual_dot2acc_f32_f16 v30, v92, v11 :: v_dual_dot2acc_f32_f16 v53, v93, v8
	;; [unrolled: 1-line block ×4, first 2 shown]
	ds_load_b128 v[8:11], v82 offset:14080
	s_waitcnt lgkmcnt(1)
	v_dual_dot2acc_f32_f16 v56, v91, v87 :: v_dual_dot2acc_f32_f16 v75, v2, v4
	v_dot2acc_f32_f16 v62, v90, v86
	v_dot2acc_f32_f16 v18, v90, v88
	;; [unrolled: 1-line block ×6, first 2 shown]
	v_dual_dot2acc_f32_f16 v50, v93, v87 :: v_dual_dot2acc_f32_f16 v77, v0, v13
	v_dot2acc_f32_f16 v42, v1, v14
	v_dual_dot2acc_f32_f16 v48, v0, v14 :: v_dual_dot2acc_f32_f16 v71, v1, v13
	v_dual_dot2acc_f32_f16 v49, v0, v15 :: v_dual_dot2acc_f32_f16 v38, v2, v14
	;; [unrolled: 1-line block ×9, first 2 shown]
	v_dot2acc_f32_f16 v47, v0, v7
	v_dot2acc_f32_f16 v79, v1, v4
	;; [unrolled: 1-line block ×8, first 2 shown]
	ds_load_b128 v[0:3], v82 offset:14336
	s_waitcnt lgkmcnt(1)
	v_dot2acc_f32_f16 v74, v8, v4
	v_dual_dot2acc_f32_f16 v66, v9, v5 :: v_dual_add_nc_u32 v17, s31, v84
	v_dot2acc_f32_f16 v62, v8, v12
	v_dual_dot2acc_f32_f16 v63, v8, v13 :: v_dual_dot2acc_f32_f16 v28, v10, v15
	s_delay_alu instid0(VALU_DEP_3)
	v_mad_u64_u32 v[86:87], null, v17, s15, v[85:86]
	v_dot2acc_f32_f16 v18, v8, v14
	v_dual_dot2acc_f32_f16 v19, v8, v15 :: v_dual_dot2acc_f32_f16 v50, v11, v13
	v_dot2acc_f32_f16 v60, v9, v12
	v_dot2acc_f32_f16 v56, v9, v13
	v_dual_dot2acc_f32_f16 v23, v9, v14 :: v_dual_dot2acc_f32_f16 v72, v8, v5
	v_dual_dot2acc_f32_f16 v25, v9, v15 :: v_dual_dot2acc_f32_f16 v20, v8, v6
	v_dot2acc_f32_f16 v52, v10, v12
	v_dot2acc_f32_f16 v54, v10, v13
	v_dual_dot2acc_f32_f16 v27, v10, v14 :: v_dual_dot2acc_f32_f16 v68, v9, v4
	v_dot2acc_f32_f16 v51, v11, v12
	v_dot2acc_f32_f16 v34, v11, v14
	v_dual_dot2acc_f32_f16 v35, v11, v15 :: v_dual_dot2acc_f32_f16 v22, v9, v6
	ds_load_b128 v[12:15], v83 offset:30720
	v_dual_dot2acc_f32_f16 v21, v8, v7 :: v_dual_dot2acc_f32_f16 v58, v10, v5
	v_lshlrev_b32_e32 v8, 1, v86
	s_mov_b32 s31, s27
	v_dual_dot2acc_f32_f16 v55, v11, v5 :: v_dual_add_nc_u32 v84, s14, v86
	v_dual_dot2acc_f32_f16 v24, v9, v7 :: v_dual_dot2acc_f32_f16 v61, v10, v4
	buffer_load_b64 v[88:89], v8, s[28:31], 0 offen
	v_add_lshl_u32 v8, v86, s0, 1
	v_lshlrev_b32_e32 v85, 1, v84
	v_dual_dot2acc_f32_f16 v29, v10, v6 :: v_dual_dot2acc_f32_f16 v26, v11, v7
	v_dual_dot2acc_f32_f16 v30, v10, v7 :: v_dual_dot2acc_f32_f16 v53, v11, v4
	buffer_load_b64 v[90:91], v8, s[28:31], 0 offen
	v_dot2acc_f32_f16 v33, v11, v6
	ds_load_b128 v[4:7], v83 offset:30976
	ds_load_b128 v[8:11], v82 offset:14592
	v_cmp_gt_i32_e32 vcc_lo, s40, v17
	s_waitcnt lgkmcnt(2)
	v_dot2acc_f32_f16 v76, v0, v12
	v_dot2acc_f32_f16 v48, v0, v14
	buffer_load_b64 v[92:93], v85, s[28:31], 0 offen
	v_add_lshl_u32 v85, v84, s0, 1
	v_dual_dot2acc_f32_f16 v65, v2, v13 :: v_dual_add_nc_u32 v84, s14, v84
	v_dual_dot2acc_f32_f16 v77, v0, v13 :: v_dual_dot2acc_f32_f16 v70, v1, v12
	buffer_load_b64 v[94:95], v85, s[28:31], 0 offen
	v_dual_dot2acc_f32_f16 v49, v0, v15 :: v_dual_dot2acc_f32_f16 v42, v1, v14
	v_lshlrev_b32_e32 v85, 1, v84
	v_dot2acc_f32_f16 v41, v2, v15
	v_dot2acc_f32_f16 v57, v3, v12
	v_dual_dot2acc_f32_f16 v32, v3, v15 :: v_dual_dot2acc_f32_f16 v71, v1, v13
	v_dot2acc_f32_f16 v64, v2, v12
	s_waitcnt lgkmcnt(1)
	v_dot2acc_f32_f16 v81, v0, v4
	v_dot2acc_f32_f16 v80, v0, v5
	;; [unrolled: 1-line block ×4, first 2 shown]
	v_add_lshl_u32 v0, v84, s0, 1
	v_add_nc_u32_e32 v84, s14, v84
	v_dot2acc_f32_f16 v40, v2, v7
	buffer_load_b64 v[96:97], v85, s[28:31], 0 offen
	s_waitcnt lgkmcnt(0)
	v_dot2acc_f32_f16 v28, v10, v15
	buffer_load_b64 v[98:99], v0, s[28:31], 0 offen
	v_lshlrev_b32_e32 v85, 1, v84
	v_dual_dot2acc_f32_f16 v45, v1, v7 :: v_dual_dot2acc_f32_f16 v62, v8, v12
	v_dual_dot2acc_f32_f16 v75, v2, v4 :: v_dual_dot2acc_f32_f16 v18, v8, v14
	buffer_load_b64 v[100:101], v85, s[28:31], 0 offen
	v_add_lshl_u32 v85, v84, s0, 1
	v_dual_dot2acc_f32_f16 v63, v8, v13 :: v_dual_dot2acc_f32_f16 v34, v11, v14
	v_dual_dot2acc_f32_f16 v19, v8, v15 :: v_dual_dot2acc_f32_f16 v50, v11, v13
	buffer_load_b64 v[102:103], v85, s[28:31], 0 offen
	v_mad_u64_u32 v[85:86], null, s14, 61, v[84:85]
	v_dot2acc_f32_f16 v37, v3, v7
	v_dual_dot2acc_f32_f16 v23, v9, v14 :: v_dual_dot2acc_f32_f16 v74, v8, v4
	v_dual_dot2acc_f32_f16 v25, v9, v15 :: v_dual_dot2acc_f32_f16 v72, v8, v5
	;; [unrolled: 1-line block ×3, first 2 shown]
	v_dual_dot2acc_f32_f16 v21, v8, v7 :: v_dual_lshlrev_b32 v84, 1, v85
	v_dot2acc_f32_f16 v22, v9, v6
	v_add_lshl_u32 v8, v85, s0, 1
	v_dual_dot2acc_f32_f16 v43, v1, v15 :: v_dual_dot2acc_f32_f16 v38, v2, v14
	buffer_load_b64 v[104:105], v84, s[28:31], 0 offen
	v_dual_dot2acc_f32_f16 v59, v3, v13 :: v_dual_dot2acc_f32_f16 v44, v1, v6
	buffer_load_b64 v[106:107], v8, s[28:31], 0 offen
	v_dual_dot2acc_f32_f16 v31, v3, v14 :: v_dual_dot2acc_f32_f16 v78, v1, v5
	v_dual_dot2acc_f32_f16 v79, v1, v4 :: v_dual_dot2acc_f32_f16 v36, v3, v6
	;; [unrolled: 1-line block ×6, first 2 shown]
	ds_load_b128 v[0:3], v82 offset:14848
	v_dual_dot2acc_f32_f16 v27, v10, v14 :: v_dual_dot2acc_f32_f16 v68, v9, v4
	v_dual_dot2acc_f32_f16 v35, v11, v15 :: v_dual_dot2acc_f32_f16 v66, v9, v5
	ds_load_b128 v[12:15], v83 offset:31232
	v_dual_dot2acc_f32_f16 v29, v10, v6 :: v_dual_add_nc_u32 v84, s14, v85
	v_dot2acc_f32_f16 v26, v11, v7
	v_dual_dot2acc_f32_f16 v24, v9, v7 :: v_dual_dot2acc_f32_f16 v61, v10, v4
	v_dual_dot2acc_f32_f16 v58, v10, v5 :: v_dual_dot2acc_f32_f16 v53, v11, v4
	s_delay_alu instid0(VALU_DEP_4)
	v_dual_dot2acc_f32_f16 v30, v10, v7 :: v_dual_lshlrev_b32 v85, 1, v84
	v_dot2acc_f32_f16 v55, v11, v5
	v_dot2acc_f32_f16 v33, v11, v6
	ds_load_b128 v[4:7], v83 offset:31488
	buffer_load_b64 v[108:109], v85, s[28:31], 0 offen
	v_add_lshl_u32 v85, v84, s0, 1
	ds_load_b128 v[8:11], v82 offset:15104
	v_add_nc_u32_e32 v84, s14, v84
	s_mov_b32 s15, s27
	buffer_load_b64 v[110:111], v85, s[28:31], 0 offen
	s_waitcnt lgkmcnt(2)
	v_dual_dot2acc_f32_f16 v76, v0, v12 :: v_dual_dot2acc_f32_f16 v65, v2, v13
	v_dual_dot2acc_f32_f16 v32, v3, v15 :: v_dual_lshlrev_b32 v85, 1, v84
	v_dual_dot2acc_f32_f16 v77, v0, v13 :: v_dual_dot2acc_f32_f16 v70, v1, v12
	v_dual_dot2acc_f32_f16 v48, v0, v14 :: v_dual_dot2acc_f32_f16 v71, v1, v13
	buffer_load_b64 v[112:113], v85, s[28:31], 0 offen
	v_dual_dot2acc_f32_f16 v49, v0, v15 :: v_dual_dot2acc_f32_f16 v42, v1, v14
	s_waitcnt lgkmcnt(1)
	v_dual_dot2acc_f32_f16 v41, v2, v15 :: v_dual_dot2acc_f32_f16 v80, v0, v5
	v_dual_dot2acc_f32_f16 v59, v3, v13 :: v_dual_dot2acc_f32_f16 v46, v0, v6
	;; [unrolled: 1-line block ×3, first 2 shown]
	v_dot2acc_f32_f16 v47, v0, v7
	v_add_lshl_u32 v0, v84, s0, 1
	v_add_nc_u32_e32 v84, s14, v84
	s_waitcnt lgkmcnt(0)
	v_dot2acc_f32_f16 v28, v10, v15
	v_dual_dot2acc_f32_f16 v43, v1, v15 :: v_dual_dot2acc_f32_f16 v64, v2, v12
	buffer_load_b64 v[114:115], v0, s[28:31], 0 offen
	v_lshlrev_b32_e32 v85, 1, v84
	v_add_lshl_u32 v84, v84, s0, 1
	v_dual_dot2acc_f32_f16 v38, v2, v14 :: v_dual_dot2acc_f32_f16 v57, v3, v12
	v_dual_dot2acc_f32_f16 v31, v3, v14 :: v_dual_dot2acc_f32_f16 v78, v1, v5
	s_clause 0x1
	buffer_load_b64 v[116:117], v85, s[28:31], 0 offen
	buffer_load_b64 v[118:119], v84, s[28:31], 0 offen
	v_dual_dot2acc_f32_f16 v79, v1, v4 :: v_dual_dot2acc_f32_f16 v40, v2, v7
	v_dual_dot2acc_f32_f16 v45, v1, v7 :: v_dual_dot2acc_f32_f16 v36, v3, v6
	;; [unrolled: 1-line block ×8, first 2 shown]
	ds_load_b128 v[0:3], v82 offset:15360
	v_dual_dot2acc_f32_f16 v63, v8, v13 :: v_dual_dot2acc_f32_f16 v34, v11, v14
	v_dual_dot2acc_f32_f16 v19, v8, v15 :: v_dual_dot2acc_f32_f16 v50, v11, v13
	;; [unrolled: 1-line block ×6, first 2 shown]
	ds_load_b128 v[84:87], v83 offset:31744
	v_dual_dot2acc_f32_f16 v35, v11, v15 :: v_dual_dot2acc_f32_f16 v66, v9, v5
	v_dual_dot2acc_f32_f16 v21, v8, v7 :: v_dual_dot2acc_f32_f16 v22, v9, v6
	;; [unrolled: 1-line block ×6, first 2 shown]
	ds_load_b128 v[12:15], v83 offset:32000
	v_dot2acc_f32_f16 v33, v11, v6
	ds_load_b128 v[4:7], v82 offset:15616
	ds_load_b128 v[8:11], v83 offset:32256
	v_cmp_gt_i32_e64 s0, s33, v16
	s_lshl_b32 s14, s23, 1
	s_waitcnt lgkmcnt(3)
	v_dot2acc_f32_f16 v76, v0, v84
	v_dual_dot2acc_f32_f16 v77, v0, v85 :: v_dual_dot2acc_f32_f16 v70, v1, v84
	v_dual_dot2acc_f32_f16 v48, v0, v86 :: v_dual_dot2acc_f32_f16 v71, v1, v85
	;; [unrolled: 1-line block ×6, first 2 shown]
	s_waitcnt lgkmcnt(2)
	v_dual_dot2acc_f32_f16 v41, v2, v87 :: v_dual_dot2acc_f32_f16 v80, v0, v13
	v_dual_dot2acc_f32_f16 v59, v3, v85 :: v_dual_dot2acc_f32_f16 v46, v0, v14
	;; [unrolled: 1-line block ×6, first 2 shown]
	s_waitcnt lgkmcnt(1)
	v_dual_dot2acc_f32_f16 v45, v1, v15 :: v_dual_dot2acc_f32_f16 v62, v4, v84
	v_dual_dot2acc_f32_f16 v75, v2, v12 :: v_dual_dot2acc_f32_f16 v18, v4, v86
	;; [unrolled: 1-line block ×7, first 2 shown]
	ds_load_b128 v[0:3], v82 offset:15872
	v_dual_dot2acc_f32_f16 v63, v4, v85 :: v_dual_dot2acc_f32_f16 v28, v6, v87
	v_dual_dot2acc_f32_f16 v19, v4, v87 :: v_dual_dot2acc_f32_f16 v50, v7, v85
	;; [unrolled: 1-line block ×12, first 2 shown]
	ds_load_b128 v[83:86], v83 offset:32512
	v_dot2acc_f32_f16 v33, v7, v14
	ds_load_b128 v[4:7], v82 offset:16128
	s_waitcnt lgkmcnt(2)
	v_dot2acc_f32_f16 v76, v0, v8
	v_add_nc_u32_e32 v82, 64, v17
	s_and_b32 s1, s0, vcc_lo
	v_dual_dot2acc_f32_f16 v77, v0, v9 :: v_dual_dot2acc_f32_f16 v70, v1, v8
	v_dual_dot2acc_f32_f16 v48, v0, v10 :: v_dual_dot2acc_f32_f16 v71, v1, v9
	;; [unrolled: 1-line block ×6, first 2 shown]
	v_dot2acc_f32_f16 v41, v2, v11
	s_waitcnt lgkmcnt(1)
	v_dual_dot2acc_f32_f16 v31, v3, v10 :: v_dual_dot2acc_f32_f16 v46, v0, v85
	v_dual_dot2acc_f32_f16 v81, v0, v83 :: v_dual_dot2acc_f32_f16 v44, v1, v85
	s_waitcnt lgkmcnt(0)
	v_dot2acc_f32_f16 v55, v7, v84
	v_cmp_gt_i32_e64 s2, s40, v82
	v_dot2acc_f32_f16 v80, v0, v84
	v_dual_dot2acc_f32_f16 v47, v0, v86 :: v_dual_dot2acc_f32_f16 v36, v3, v85
	v_dual_dot2acc_f32_f16 v79, v1, v83 :: v_dual_dot2acc_f32_f16 v40, v2, v86
	s_delay_alu instid0(VALU_DEP_4)
	s_and_b32 s0, s0, s2
	v_dual_dot2acc_f32_f16 v75, v2, v83 :: v_dual_dot2acc_f32_f16 v18, v4, v10
	v_dual_dot2acc_f32_f16 v73, v2, v84 :: v_dual_dot2acc_f32_f16 v56, v5, v9
	;; [unrolled: 1-line block ×8, first 2 shown]
	v_or_b32_e32 v84, 1, v16
	v_dual_dot2acc_f32_f16 v45, v1, v86 :: v_dual_dot2acc_f32_f16 v62, v4, v8
	v_dual_dot2acc_f32_f16 v69, v3, v83 :: v_dual_dot2acc_f32_f16 v52, v6, v8
	;; [unrolled: 1-line block ×11, first 2 shown]
	s_waitcnt vmcnt(15)
	v_cndmask_b32_e64 v0, 0, v88, s1
	v_cndmask_b32_e64 v15, 0, v89, s1
	v_dual_dot2acc_f32_f16 v30, v6, v86 :: v_dual_dot2acc_f32_f16 v33, v7, v85
	v_or_b32_e32 v86, 2, v16
	s_delay_alu instid0(VALU_DEP_4)
	v_lshrrev_b32_e32 v1, 16, v0
	s_waitcnt vmcnt(14)
	v_cndmask_b32_e64 v2, 0, v90, s0
	v_cvt_f32_f16_e32 v0, v0
	v_cndmask_b32_e64 v83, 0, v91, s0
	v_cmp_gt_i32_e64 s0, s33, v84
	v_cvt_f32_f16_e32 v1, v1
	v_cvt_f32_f16_e32 v3, v2
	v_lshrrev_b32_e32 v2, 16, v2
	v_add_f32_e32 v0, v76, v0
	s_and_b32 s1, s0, vcc_lo
	v_add_f32_e32 v1, v77, v1
	s_and_b32 s0, s0, s2
	v_cvt_f32_f16_e32 v2, v2
	v_add_f32_e32 v3, v81, v3
	s_waitcnt vmcnt(13)
	v_cndmask_b32_e64 v4, 0, v92, s1
	v_max_f32_e32 v77, 0, v0
	v_cndmask_b32_e64 v76, 0, v93, s1
	v_add_f32_e32 v0, v80, v2
	s_waitcnt vmcnt(12)
	v_cndmask_b32_e64 v2, 0, v94, s0
	v_max_f32_e32 v85, 0, v3
	v_cndmask_b32_e64 v80, 0, v95, s0
	v_cmp_gt_i32_e64 s0, s33, v86
	v_max_f32_e32 v87, 0, v0
	v_cvt_f32_f16_e32 v0, v4
	v_max_f32_e32 v81, 0, v1
	v_lshrrev_b32_e32 v1, 16, v4
	v_cvt_f32_f16_e32 v3, v2
	v_lshrrev_b32_e32 v2, 16, v2
	v_add_f32_e32 v0, v70, v0
	s_and_b32 s1, s0, vcc_lo
	v_cvt_f32_f16_e32 v1, v1
	s_waitcnt vmcnt(11)
	v_cndmask_b32_e64 v4, 0, v96, s1
	v_cvt_f32_f16_e32 v2, v2
	s_and_b32 s0, s0, s2
	v_or_b32_e32 v89, 3, v16
	v_add_f32_e32 v1, v71, v1
	s_delay_alu instid0(VALU_DEP_3)
	v_dual_max_f32 v71, 0, v0 :: v_dual_add_f32 v0, v78, v2
	s_waitcnt vmcnt(10)
	v_cndmask_b32_e64 v2, 0, v98, s0
	v_cndmask_b32_e64 v78, 0, v99, s0
	v_cmp_gt_i32_e64 s0, s33, v89
	v_cndmask_b32_e64 v70, 0, v97, s1
	v_max_f32_e32 v90, 0, v0
	v_cvt_f32_f16_e32 v0, v4
	v_add_f32_e32 v3, v79, v3
	v_max_f32_e32 v79, 0, v1
	v_lshrrev_b32_e32 v1, 16, v4
	s_and_b32 s1, s0, vcc_lo
	v_add_f32_e32 v0, v64, v0
	v_max_f32_e32 v88, 0, v3
	v_cvt_f32_f16_e32 v3, v2
	v_cvt_f32_f16_e32 v1, v1
	v_lshrrev_b32_e32 v2, 16, v2
	s_waitcnt vmcnt(9)
	v_cndmask_b32_e64 v4, 0, v100, s1
	s_and_b32 s0, s0, s2
	v_add_f32_e32 v3, v75, v3
	v_add_f32_e32 v1, v65, v1
	v_cvt_f32_f16_e32 v2, v2
	v_max_f32_e32 v65, 0, v0
	s_delay_alu instid0(VALU_DEP_4) | instskip(NEXT) | instid1(VALU_DEP_4)
	v_dual_max_f32 v91, 0, v3 :: v_dual_add_nc_u32 v0, 64, v16
	v_max_f32_e32 v75, 0, v1
	s_delay_alu instid0(VALU_DEP_4)
	v_add_f32_e32 v1, v73, v2
	v_lshrrev_b32_e32 v2, 16, v4
	s_waitcnt vmcnt(8)
	v_cndmask_b32_e64 v3, 0, v102, s0
	v_cndmask_b32_e64 v73, 0, v103, s0
	v_cmp_gt_i32_e64 s0, s33, v0
	v_max_f32_e32 v92, 0, v1
	v_cvt_f32_f16_e32 v1, v4
	v_cvt_f32_f16_e32 v2, v2
	;; [unrolled: 1-line block ×3, first 2 shown]
	v_lshrrev_b32_e32 v3, 16, v3
	v_cndmask_b32_e64 v64, 0, v101, s1
	s_and_b32 s1, s0, vcc_lo
	v_add_f32_e32 v2, v59, v2
	s_waitcnt vmcnt(7)
	v_cndmask_b32_e64 v6, 0, v104, s1
	v_cvt_f32_f16_e32 v3, v3
	s_and_b32 s0, s0, s2
	v_dual_add_f32 v4, v69, v4 :: v_dual_max_f32 v59, 0, v2
	v_add_nc_u32_e32 v10, 0x42, v16
	s_delay_alu instid0(VALU_DEP_3)
	v_add_f32_e32 v2, v67, v3
	v_lshrrev_b32_e32 v3, 16, v6
	s_waitcnt vmcnt(6)
	v_cndmask_b32_e64 v7, 0, v106, s0
	v_max_f32_e32 v69, 0, v4
	v_dual_max_f32 v67, 0, v2 :: v_dual_add_nc_u32 v4, 0x41, v16
	v_cvt_f32_f16_e32 v2, v6
	v_cvt_f32_f16_e32 v3, v3
	;; [unrolled: 1-line block ×3, first 2 shown]
	v_lshrrev_b32_e32 v7, 16, v7
	s_delay_alu instid0(VALU_DEP_4) | instskip(NEXT) | instid1(VALU_DEP_4)
	v_add_f32_e32 v2, v62, v2
	v_dual_add_f32 v8, v63, v3 :: v_dual_add_f32 v5, v57, v1
	s_delay_alu instid0(VALU_DEP_4) | instskip(SKIP_1) | instid1(VALU_DEP_3)
	v_add_f32_e32 v6, v74, v6
	v_cndmask_b32_e64 v1, 0, v105, s1
	v_dual_max_f32 v3, 0, v2 :: v_dual_max_f32 v2, 0, v8
	s_delay_alu instid0(VALU_DEP_3)
	v_dual_max_f32 v57, 0, v5 :: v_dual_max_f32 v6, 0, v6
	v_cndmask_b32_e64 v5, 0, v107, s0
	v_cmp_gt_i32_e64 s0, s33, v4
	v_cvt_f32_f16_e32 v7, v7
	v_cvt_f16_f32_e32 v2, v2
	v_cvt_f16_f32_e32 v6, v6
	s_delay_alu instid0(VALU_DEP_4)
	s_and_b32 s1, s0, vcc_lo
	s_and_b32 s0, s0, s2
	s_waitcnt vmcnt(5)
	v_cndmask_b32_e64 v9, 0, v108, s1
	s_waitcnt vmcnt(4)
	v_cndmask_b32_e64 v12, 0, v110, s0
	v_cndmask_b32_e64 v8, 0, v111, s0
	v_cmp_gt_i32_e64 s0, s33, v10
	v_cndmask_b32_e64 v13, 0, v109, s1
	v_lshrrev_b32_e32 v11, 16, v9
	v_cvt_f32_f16_e32 v14, v12
	v_lshrrev_b32_e32 v12, 16, v12
	s_and_b32 s1, s0, vcc_lo
	v_add_f32_e32 v7, v72, v7
	v_cvt_f32_f16_e32 v11, v11
	s_waitcnt vmcnt(3)
	v_cndmask_b32_e64 v62, 0, v112, s1
	v_add_f32_e32 v14, v68, v14
	v_cvt_f32_f16_e32 v9, v9
	s_and_b32 s0, s0, s2
	v_add_f32_e32 v11, v56, v11
	v_cvt_f32_f16_e32 v56, v12
	s_waitcnt vmcnt(2)
	v_cndmask_b32_e64 v68, 0, v114, s0
	s_delay_alu instid0(VALU_DEP_3) | instskip(NEXT) | instid1(VALU_DEP_3)
	v_dual_max_f32 v12, 0, v11 :: v_dual_max_f32 v11, 0, v14
	v_add_f32_e32 v14, v66, v56
	v_cvt_f32_f16_e32 v56, v62
	v_dual_max_f32 v7, 0, v7 :: v_dual_add_nc_u32 v66, 0x43, v16
	v_cvt_f16_f32_e32 v3, v3
	s_delay_alu instid0(VALU_DEP_3) | instskip(SKIP_4) | instid1(VALU_DEP_4)
	v_add_f32_e32 v52, v52, v56
	v_add_f32_e32 v9, v60, v9
	v_lshrrev_b32_e32 v56, 16, v68
	v_cndmask_b32_e64 v60, 0, v113, s1
	v_cmp_gt_i32_e64 s1, s16, v16
	v_dual_max_f32 v52, 0, v52 :: v_dual_max_f32 v63, 0, v9
	v_lshrrev_b32_e32 v9, 16, v62
	v_cndmask_b32_e64 v62, 0, v115, s0
	v_cmp_gt_i32_e64 s0, s33, v66
	v_cvt_f32_f16_e32 v56, v56
	v_cvt_f16_f32_e32 v7, v7
	v_cvt_f32_f16_e32 v9, v9
	s_delay_alu instid0(VALU_DEP_4) | instskip(SKIP_2) | instid1(VALU_DEP_2)
	s_and_b32 vcc_lo, s0, vcc_lo
	s_and_b32 s0, s0, s2
	v_add_f32_e32 v56, v58, v56
	v_dual_add_f32 v54, v54, v9 :: v_dual_max_f32 v9, 0, v14
	v_cvt_f32_f16_e32 v14, v68
	s_waitcnt vmcnt(0)
	v_cndmask_b32_e64 v74, 0, v118, s0
	s_lshl_b32 s2, s35, 6
	v_cndmask_b32_e32 v68, 0, v117, vcc_lo
	v_cndmask_b32_e64 v72, 0, v119, s0
	v_dual_add_f32 v14, v61, v14 :: v_dual_cndmask_b32 v61, 0, v116
	v_cmp_gt_i32_e32 vcc_lo, s19, v17
	v_max_f32_e32 v56, 0, v56
	v_max_f32_e32 v54, 0, v54
	v_cvt_f16_f32_e32 v11, v11
	v_cvt_f32_f16_e32 v93, v61
	v_lshrrev_b32_e32 v58, 16, v61
	v_max_f32_e32 v61, 0, v14
	v_lshrrev_b32_e32 v14, 16, v74
	s_and_b32 s0, s1, vcc_lo
	v_cvt_f32_f16_e32 v74, v74
	v_cvt_f32_f16_e32 v58, v58
	v_add_f32_e32 v51, v51, v93
	v_lshrrev_b32_e32 v93, 16, v15
	v_cvt_f32_f16_e32 v14, v14
	v_cvt_f32_f16_e32 v15, v15
	s_delay_alu instid0(VALU_DEP_4) | instskip(NEXT) | instid1(VALU_DEP_4)
	v_dual_add_f32 v50, v50, v58 :: v_dual_max_f32 v51, 0, v51
	v_cvt_f32_f16_e32 v58, v93
	s_delay_alu instid0(VALU_DEP_4)
	v_add_f32_e32 v55, v55, v14
	v_mul_lo_u32 v14, v16, s34
	v_add_f32_e32 v15, v48, v15
	v_cvt_f16_f32_e32 v16, v81
	v_add_f32_e32 v58, v49, v58
	v_max_f32_e32 v50, 0, v50
	v_cvt_f16_f32_e32 v9, v9
	v_mad_u64_u32 v[48:49], null, v17, s35, v[14:15]
	v_cvt_f16_f32_e32 v14, v77
	v_max_f32_e32 v49, 0, v58
	v_max_f32_e32 v15, 0, v15
	v_cvt_f32_f16_e32 v58, v80
	s_delay_alu instid0(VALU_DEP_4) | instskip(NEXT) | instid1(VALU_DEP_4)
	v_pack_b32_f16 v14, v14, v16
	v_cvt_f16_f32_e32 v17, v49
	s_delay_alu instid0(VALU_DEP_4)
	v_cvt_f16_f32_e32 v15, v15
	v_lshrrev_b32_e32 v49, 16, v83
	v_cndmask_b32_e64 v16, 0x80000000, 0, s0
	v_add_f32_e32 v44, v44, v58
	v_cmp_gt_i32_e64 s0, s19, v82
	v_pack_b32_f16 v15, v15, v17
	v_cvt_f32_f16_e32 v17, v49
	v_lshl_add_u32 v16, v48, 1, v16
	v_cvt_f32_f16_e32 v49, v83
	v_dual_add_f32 v53, v53, v74 :: v_dual_max_f32 v44, 0, v44
	s_delay_alu instid0(VALU_DEP_4)
	v_add_f32_e32 v17, v47, v17
	buffer_store_b64 v[14:15], v16, s[12:15], 0 offen
	v_dual_max_f32 v55, 0, v55 :: v_dual_add_nc_u32 v16, s2, v48
	v_add_f32_e32 v46, v46, v49
	v_cvt_f32_f16_e32 v74, v76
	v_max_f32_e32 v15, 0, v17
	v_lshrrev_b32_e32 v17, 16, v80
	s_delay_alu instid0(VALU_DEP_4) | instskip(SKIP_2) | instid1(VALU_DEP_3)
	v_dual_max_f32 v53, 0, v53 :: v_dual_max_f32 v46, 0, v46
	s_and_b32 s1, s1, s0
	v_add_f32_e32 v42, v42, v74
	v_cvt_f32_f16_e32 v17, v17
	v_cvt_f16_f32_e32 v15, v15
	v_cvt_f16_f32_e32 v46, v46
	v_cndmask_b32_e64 v49, 0x80000000, 0, s1
	v_cvt_f16_f32_e32 v14, v85
	v_dual_add_f32 v17, v45, v17 :: v_dual_max_f32 v42, 0, v42
	v_cvt_f16_f32_e32 v47, v87
	v_pack_b32_f16 v15, v46, v15
	v_lshl_add_u32 v45, v16, 1, v49
	v_add_nc_u32_e32 v46, s34, v16
	v_max_f32_e32 v16, 0, v17
	v_lshrrev_b32_e32 v17, 16, v76
	v_cmp_gt_i32_e64 s1, s16, v84
	v_pack_b32_f16 v14, v14, v47
	v_cvt_f16_f32_e32 v47, v88
	v_cvt_f16_f32_e32 v49, v90
	;; [unrolled: 1-line block ×3, first 2 shown]
	v_cvt_f32_f16_e32 v17, v17
	v_cvt_f16_f32_e32 v44, v44
	s_and_b32 s3, s1, s0
	v_pack_b32_f16 v16, v47, v49
	v_add_nc_u32_e32 v47, s34, v48
	v_add_f32_e32 v43, v43, v17
	v_pack_b32_f16 v17, v44, v58
	v_cndmask_b32_e64 v44, 0x80000000, 0, s3
	v_cvt_f16_f32_e32 v48, v71
	v_cvt_f16_f32_e32 v49, v79
	v_lshrrev_b32_e32 v71, 16, v70
	buffer_store_b64 v[14:15], v45, s[12:15], 0 offen
	v_lshl_add_u32 v44, v46, 1, v44
	v_cvt_f32_f16_e32 v14, v70
	v_cvt_f16_f32_e32 v58, v42
	v_pack_b32_f16 v42, v48, v49
	v_cvt_f32_f16_e32 v48, v71
	buffer_store_b64 v[16:17], v44, s[12:15], 0 offen
	v_add_nc_u32_e32 v16, s34, v47
	v_dual_max_f32 v43, 0, v43 :: v_dual_add_f32 v14, v38, v14
	v_lshrrev_b32_e32 v38, 16, v78
	s_and_b32 s1, s1, vcc_lo
	v_cvt_f16_f32_e32 v17, v65
	v_cndmask_b32_e64 v74, 0x80000000, 0, s1
	v_cmp_gt_i32_e64 s1, s16, v86
	v_cvt_f16_f32_e32 v43, v43
	v_cvt_f32_f16_e32 v38, v38
	v_dual_add_f32 v15, v41, v48 :: v_dual_max_f32 v14, 0, v14
	s_delay_alu instid0(VALU_DEP_4) | instskip(NEXT) | instid1(VALU_DEP_3)
	s_and_b32 s3, s1, vcc_lo
	v_pack_b32_f16 v43, v58, v43
	s_delay_alu instid0(VALU_DEP_3)
	v_add_f32_e32 v38, v40, v38
	v_lshl_add_u32 v49, v47, 1, v74
	v_max_f32_e32 v15, 0, v15
	v_cndmask_b32_e64 v44, 0x80000000, 0, s3
	v_cvt_f16_f32_e32 v41, v75
	s_and_b32 s1, s1, s0
	buffer_store_b64 v[42:43], v49, s[12:15], 0 offen
	v_cvt_f32_f16_e32 v42, v78
	v_cvt_f16_f32_e32 v43, v14
	v_lshl_add_u32 v40, v16, 1, v44
	v_max_f32_e32 v16, 0, v38
	v_cvt_f16_f32_e32 v15, v15
	v_lshrrev_b32_e32 v38, 16, v73
	v_pack_b32_f16 v14, v17, v41
	v_cvt_f16_f32_e32 v41, v92
	v_add_nc_u32_e32 v44, s34, v46
	v_pack_b32_f16 v15, v43, v15
	v_cvt_f32_f16_e32 v43, v73
	v_add_f32_e32 v39, v39, v42
	v_cvt_f32_f16_e32 v38, v38
	v_cvt_f16_f32_e32 v42, v16
	v_lshrrev_b32_e32 v46, 16, v64
	v_add_f32_e32 v36, v36, v43
	v_max_f32_e32 v17, 0, v39
	v_add_f32_e32 v37, v37, v38
	v_cvt_f16_f32_e32 v39, v91
	v_cndmask_b32_e64 v38, 0x80000000, 0, s1
	v_max_f32_e32 v36, 0, v36
	v_cvt_f16_f32_e32 v17, v17
	v_max_f32_e32 v37, 0, v37
	v_cmp_gt_i32_e64 s1, s16, v89
	v_pack_b32_f16 v16, v39, v41
	v_cvt_f16_f32_e32 v41, v69
	v_pack_b32_f16 v17, v17, v42
	v_cvt_f16_f32_e32 v42, v67
	v_cvt_f16_f32_e32 v37, v37
	s_and_b32 s3, s1, s0
	v_cvt_f16_f32_e32 v43, v36
	v_cndmask_b32_e64 v45, 0x80000000, 0, s3
	v_pack_b32_f16 v36, v41, v42
	v_cvt_f32_f16_e32 v42, v46
	v_add_nc_u32_e32 v39, s34, v44
	v_pack_b32_f16 v37, v43, v37
	v_cvt_f32_f16_e32 v43, v64
	v_lshl_add_u32 v38, v44, 1, v38
	s_and_b32 s1, s1, vcc_lo
	v_lshl_add_u32 v41, v39, 1, v45
	s_clause 0x2
	buffer_store_b64 v[14:15], v40, s[12:15], 0 offen
	buffer_store_b64 v[16:17], v38, s[12:15], 0 offen
	;; [unrolled: 1-line block ×3, first 2 shown]
	v_add_f32_e32 v14, v32, v42
	v_subrev_nc_u32_e32 v16, s2, v39
	v_add_f32_e32 v15, v31, v43
	v_lshrrev_b32_e32 v17, 16, v68
	v_cvt_f32_f16_e32 v36, v68
	v_max_f32_e32 v14, 0, v14
	s_delay_alu instid0(VALU_DEP_4) | instskip(NEXT) | instid1(VALU_DEP_4)
	v_dual_max_f32 v15, 0, v15 :: v_dual_lshlrev_b32 v38, 1, v16
	v_cvt_f32_f16_e32 v17, v17
	s_delay_alu instid0(VALU_DEP_4)
	v_add_f32_e32 v34, v34, v36
	v_cvt_f16_f32_e32 v31, v57
	v_cvt_f16_f32_e32 v32, v59
	;; [unrolled: 1-line block ×4, first 2 shown]
	v_add_f32_e32 v17, v35, v17
	v_cndmask_b32_e64 v35, 0x80000000, 0, s1
	v_pack_b32_f16 v14, v31, v32
	v_lshrrev_b32_e32 v36, 16, v72
	v_pack_b32_f16 v15, v15, v37
	s_delay_alu instid0(VALU_DEP_4) | instskip(SKIP_3) | instid1(VALU_DEP_4)
	v_dual_max_f32 v31, 0, v34 :: v_dual_add_nc_u32 v32, v38, v35
	v_cmp_gt_i32_e64 s1, s16, v66
	v_cvt_f16_f32_e32 v34, v51
	v_cvt_f16_f32_e32 v35, v50
	;; [unrolled: 1-line block ×3, first 2 shown]
	buffer_store_b64 v[14:15], v32, s[12:15], 0 offen
	v_cvt_f32_f16_e32 v32, v36
	v_max_f32_e32 v17, 0, v17
	s_and_b32 s3, s1, vcc_lo
	v_pack_b32_f16 v14, v34, v35
	v_cvt_f32_f16_e32 v34, v72
	v_add_f32_e32 v26, v26, v32
	v_cvt_f16_f32_e32 v17, v17
	s_and_b32 s1, s1, s0
	s_delay_alu instid0(SALU_CYCLE_1) | instskip(SKIP_1) | instid1(VALU_DEP_3)
	v_cndmask_b32_e64 v36, 0x80000000, 0, s1
	v_cmp_ge_i32_e64 s1, s16, v66
	v_pack_b32_f16 v15, v31, v17
	v_cndmask_b32_e64 v17, 0x80000000, 0, s3
	s_lshl_b32 s3, s34, 7
	v_add_f32_e32 v31, v33, v34
	v_lshl_add_u32 v33, s4, 6, v16
	v_max_f32_e32 v16, 0, v26
	v_add3_u32 v32, v17, s3, v38
	v_lshrrev_b32_e32 v17, 16, v62
	v_cvt_f16_f32_e32 v34, v55
	s_and_b32 s1, s1, s0
	v_cvt_f16_f32_e32 v35, v16
	v_cndmask_b32_e64 v37, 0x80000000, 0, s1
	v_cvt_f32_f16_e32 v16, v17
	v_cvt_f32_f16_e32 v17, v62
	v_cmp_gt_i32_e64 s1, s16, v10
	s_delay_alu instid0(VALU_DEP_2) | instskip(SKIP_2) | instid1(VALU_DEP_4)
	v_dual_add_f32 v30, v30, v16 :: v_dual_add_f32 v29, v29, v17
	v_max_f32_e32 v26, 0, v31
	v_cvt_f16_f32_e32 v31, v53
	s_and_b32 s1, s1, vcc_lo
	s_delay_alu instid0(VALU_DEP_3) | instskip(NEXT) | instid1(VALU_DEP_3)
	v_max_f32_e32 v29, 0, v29
	v_cvt_f16_f32_e32 v26, v26
	s_delay_alu instid0(VALU_DEP_3) | instskip(SKIP_2) | instid1(VALU_DEP_4)
	v_pack_b32_f16 v16, v31, v34
	v_cvt_f16_f32_e32 v31, v61
	v_cvt_f16_f32_e32 v34, v56
	v_pack_b32_f16 v17, v26, v35
	v_lshl_add_u32 v26, v33, 1, v36
	v_lshrrev_b32_e32 v36, 16, v60
	v_cvt_f16_f32_e32 v35, v29
	v_pack_b32_f16 v29, v31, v34
	v_cvt_f32_f16_e32 v34, v60
	s_clause 0x1
	buffer_store_b64 v[14:15], v32, s[12:15], 0 offen
	buffer_store_b64 v[16:17], v26, s[12:15], 0 offen
	v_cvt_f32_f16_e32 v31, v36
	v_cvt_f16_f32_e32 v17, v52
	v_lshrrev_b32_e32 v26, 16, v13
	v_add_f32_e32 v15, v27, v34
	v_max_f32_e32 v30, 0, v30
	v_add_f32_e32 v14, v28, v31
	v_cvt_f16_f32_e32 v27, v54
	v_cvt_f32_f16_e32 v28, v13
	v_max_f32_e32 v15, 0, v15
	v_cvt_f16_f32_e32 v30, v30
	v_max_f32_e32 v14, 0, v14
	v_subrev_nc_u32_e32 v33, s34, v33
	v_cvt_f32_f16_e32 v26, v26
	v_cvt_f16_f32_e32 v15, v15
	v_pack_b32_f16 v13, v17, v27
	v_add_f32_e32 v17, v23, v28
	v_cvt_f16_f32_e32 v14, v14
	v_pack_b32_f16 v30, v35, v30
	v_lshl_add_u32 v35, v33, 1, v37
	v_subrev_nc_u32_e32 v16, s2, v33
	s_delay_alu instid0(VALU_DEP_4)
	v_pack_b32_f16 v14, v15, v14
	v_add_f32_e32 v15, v25, v26
	v_lshrrev_b32_e32 v26, 16, v8
	v_cvt_f32_f16_e32 v8, v8
	buffer_store_b64 v[29:30], v35, s[12:15], 0 offen
	v_cndmask_b32_e64 v29, 0x80000000, 0, s1
	v_subrev_nc_u32_e32 v25, s34, v16
	v_cmp_ge_i32_e64 s1, s16, v10
	v_add_f32_e32 v8, v22, v8
	v_cvt_f16_f32_e32 v10, v12
	v_lshl_add_u32 v23, v16, 1, v29
	v_cvt_f16_f32_e32 v16, v63
	v_cvt_f32_f16_e32 v26, v26
	v_dual_max_f32 v8, 0, v8 :: v_dual_max_f32 v15, 0, v15
	v_lshrrev_b32_e32 v22, 16, v5
	s_and_b32 s1, s1, vcc_lo
	v_cvt_f32_f16_e32 v5, v5
	v_cndmask_b32_e64 v27, 0x80000000, 0, s1
	v_cvt_f16_f32_e32 v12, v15
	v_pack_b32_f16 v15, v16, v10
	v_dual_add_f32 v10, v24, v26 :: v_dual_max_f32 v17, 0, v17
	v_cmp_gt_i32_e64 s1, s16, v4
	v_cvt_f16_f32_e32 v24, v8
	v_cvt_f32_f16_e32 v22, v22
	s_delay_alu instid0(VALU_DEP_4) | instskip(SKIP_3) | instid1(VALU_DEP_3)
	v_max_f32_e32 v10, 0, v10
	v_cvt_f16_f32_e32 v17, v17
	s_and_b32 s1, s1, s0
	v_pack_b32_f16 v8, v11, v9
	v_cvt_f16_f32_e32 v10, v10
	s_delay_alu instid0(VALU_DEP_3)
	v_pack_b32_f16 v16, v17, v12
	v_lshl_add_u32 v12, v25, 1, v27
	v_add_nc_u32_e32 v17, s2, v25
	v_cndmask_b32_e64 v25, 0x80000000, 0, s1
	v_pack_b32_f16 v9, v24, v10
	v_dual_add_f32 v10, v21, v22 :: v_dual_add_f32 v5, v20, v5
	v_lshrrev_b32_e32 v20, 16, v1
	v_cvt_f32_f16_e32 v1, v1
	v_lshl_add_u32 v11, v17, 1, v25
	s_delay_alu instid0(VALU_DEP_4)
	v_max_f32_e32 v10, 0, v10
	v_subrev_nc_u32_e32 v17, s34, v17
	v_cmp_gt_i32_e64 s2, s16, v0
	v_add_f32_e32 v0, v18, v1
	v_max_f32_e32 v21, 0, v5
	v_pack_b32_f16 v5, v6, v7
	v_cvt_f32_f16_e32 v7, v20
	v_cmp_ge_i32_e64 s1, s16, v4
	v_cvt_f16_f32_e32 v6, v10
	s_delay_alu instid0(VALU_DEP_3) | instskip(NEXT) | instid1(VALU_DEP_3)
	v_dual_add_f32 v7, v19, v7 :: v_dual_lshlrev_b32 v10, 1, v17
	s_and_b32 s0, s1, s0
	s_delay_alu instid0(SALU_CYCLE_1) | instskip(SKIP_1) | instid1(VALU_DEP_2)
	v_cndmask_b32_e64 v1, 0x80000000, 0, s0
	s_and_b32 s0, s2, vcc_lo
	v_dual_max_f32 v7, 0, v7 :: v_dual_max_f32 v0, 0, v0
	v_cndmask_b32_e64 v17, 0x80000000, 0, s0
	s_lshl_b32 s0, s35, 7
	v_cvt_f16_f32_e32 v4, v21
	s_delay_alu instid0(VALU_DEP_3)
	v_cvt_f16_f32_e32 v7, v7
	v_cvt_f16_f32_e32 v18, v0
	v_subrev_nc_u32_e32 v17, s0, v17
	v_pack_b32_f16 v0, v3, v2
	v_pack_b32_f16 v6, v4, v6
	v_add_nc_u32_e32 v4, v10, v1
	v_pack_b32_f16 v1, v18, v7
	v_add_nc_u32_e32 v2, v17, v10
	s_clause 0x4
	buffer_store_b64 v[13:14], v23, s[12:15], 0 offen
	buffer_store_b64 v[15:16], v12, s[12:15], 0 offen
	;; [unrolled: 1-line block ×5, first 2 shown]
	s_nop 0
	s_sendmsg sendmsg(MSG_DEALLOC_VGPRS)
	s_endpgm
	.section	.rodata,"a",@progbits
	.p2align	6, 0x0
	.amdhsa_kernel _ZN2ck16tensor_operation6device12_GLOBAL__N_137kernel_grouped_conv_fwd_dl_multiple_dINS_32GridwiseGemmDlMultipleD_km_kn_mnILi256EDF16_fNS_5TupleIJDF16_EEEDF16_NS0_12element_wise11PassThroughES8_NS7_7AddReluELNS_25InMemoryDataOperationEnumE0ENS_16TensorDescriptorINS5_IJNS_5EmbedINS5_IJiiiEEESD_Lb0EEENS_11PassThroughIiEENS_3PadIiiiLb0EEESG_SG_NSC_INS5_IJiiEEESJ_Lb0EEESG_NS_23Merge_v2_magic_divisionISJ_EESM_NS_8RightPadIiiLb0EEESO_NS_7UnMergeISJ_Lb0EEESG_EEENS5_IJNS_8SequenceIJLi0EEEENSS_IJLi1EEEENSS_IJLi2EEEENSS_IJLi3EEEENSS_IJLi4EEEENSS_IJLi5EEEENSS_IJLi6EEEENSS_IJLi7ELi9EEEENSS_IJLi8ELi10EEEENSS_IJLi11EEEENSS_IJLi12EEEENSS_IJLi14EEEENSS_IJLi13EEEEEEENS5_IJNSS_IJLi1ELi2ELi3EEEESX_SY_SZ_NSS_IJLi7EEEENSS_IJLi8ELi9EEEENSS_IJLi10EEEES12_S13_S15_S14_NSS_IJLi15ELi16EEEENSS_IJLi17EEEEEEENSS_IJLi15ELi17ELi16EEEElEENSB_INS5_IJSQ_SO_SO_SQ_SG_EEENS5_IJST_SU_SV_SX_SW_EEENS5_IJNSS_IJLi1ELi2EEEESW_SX_NSS_IJLi5ELi6EEEES18_EEENSS_IJLi5ELi7ELi6EEEElEENSB_INS5_IJSK_SO_SO_EEENS5_IJST_SU_SV_EEENS5_IJS1I_SW_SX_EEENSS_IJLi3ELi4EEEElEELi128ELi128ELi16ELi2ELi4ELi4ELi1ENSS_IJLi8ELi2EEEES1S_NSS_IJLi8ELi1ELi1ELi2EEEENSS_IJLi2ELi1ELi128ELi1EEEENSS_IJLi1ELi2ELi0ELi3EEEES1V_NSS_IJLi4ELi1ELi1ELi2EEEES1V_NSS_IJLi1ELi1ELi1ELi2EEEES1T_S1U_S1V_S1V_S1W_S1V_S1X_NSS_IJLi0ELi1ELi2ELi3ELi4ELi5EEEELi5ELi4EEEDF16_NS5_IJPKDF16_EEEDF16_S8_S8_S9_NSB_INS5_IJSE_SG_SI_SG_SG_SK_SG_SM_SM_SO_SO_SQ_SG_SG_NSP_INS5_IJiNS_17integral_constantIiLi128EEEEEELb0EEENSF_INS23_IiLi2EEEEEEEENS5_IJST_SU_SV_SW_SX_SY_SZ_S10_S11_S12_S13_S14_S15_NSS_IJLi15EEEES1C_NSS_IJLi16EEEEEEENS5_IJS17_SX_SY_SZ_S18_S19_S1A_S12_S13_S15_S14_S1B_S1C_NSS_IJLi18EEEENSS_IJLi19ELi20EEEENSS_IJLi21EEEEEEENSS_IJLi18ELi19ELi20ELi21EEEElEENSB_INS5_IJSQ_SO_SO_SQ_SG_SG_S26_S28_EEENS5_IJST_SU_SV_SX_SW_SY_S18_SZ_EEENS5_IJS1I_SW_SX_S1J_S18_NSS_IJLi8EEEENSS_IJLi9ELi10EEEES12_EEENSS_IJLi8ELi9ELi10ELi11EEEElEENS5_IJNSB_INS5_IJSK_SO_SO_NSP_INS5_IJiS27_NS23_IiLi64EEEEEELb0EEES2S_EEENS5_IJST_SU_SV_SW_SX_EEENS5_IJS1I_SW_SX_NSS_IJLi5ELi6ELi7EEEENSS_IJLi8ELi9ELi10EEEEEEENSS_IJLi5ELi6ELi7ELi8ELi9ELi10EEEElEEEEES2Z_NS_31BlockToCTileMap_M00_N00_M01_N01ILi128ELi128ES1R_Lb0EEENS1_30ComputePtrOffsetOfStridedBatchILi1ELi1ELi1EvEELb0ELb1EEEvPKT0_S37_T1_PT2_T3_T4_T5_iT6_T7_T8_T9_T10_T11_
		.amdhsa_group_segment_fixed_size 32768
		.amdhsa_private_segment_fixed_size 0
		.amdhsa_kernarg_size 904
		.amdhsa_user_sgpr_count 15
		.amdhsa_user_sgpr_dispatch_ptr 0
		.amdhsa_user_sgpr_queue_ptr 0
		.amdhsa_user_sgpr_kernarg_segment_ptr 1
		.amdhsa_user_sgpr_dispatch_id 0
		.amdhsa_user_sgpr_private_segment_size 0
		.amdhsa_wavefront_size32 1
		.amdhsa_uses_dynamic_stack 0
		.amdhsa_enable_private_segment 0
		.amdhsa_system_sgpr_workgroup_id_x 1
		.amdhsa_system_sgpr_workgroup_id_y 0
		.amdhsa_system_sgpr_workgroup_id_z 0
		.amdhsa_system_sgpr_workgroup_info 0
		.amdhsa_system_vgpr_workitem_id 0
		.amdhsa_next_free_vgpr 183
		.amdhsa_next_free_sgpr 52
		.amdhsa_reserve_vcc 1
		.amdhsa_float_round_mode_32 0
		.amdhsa_float_round_mode_16_64 0
		.amdhsa_float_denorm_mode_32 3
		.amdhsa_float_denorm_mode_16_64 3
		.amdhsa_dx10_clamp 1
		.amdhsa_ieee_mode 1
		.amdhsa_fp16_overflow 0
		.amdhsa_workgroup_processor_mode 1
		.amdhsa_memory_ordered 1
		.amdhsa_forward_progress 0
		.amdhsa_shared_vgpr_count 0
		.amdhsa_exception_fp_ieee_invalid_op 0
		.amdhsa_exception_fp_denorm_src 0
		.amdhsa_exception_fp_ieee_div_zero 0
		.amdhsa_exception_fp_ieee_overflow 0
		.amdhsa_exception_fp_ieee_underflow 0
		.amdhsa_exception_fp_ieee_inexact 0
		.amdhsa_exception_int_div_zero 0
	.end_amdhsa_kernel
	.section	.text._ZN2ck16tensor_operation6device12_GLOBAL__N_137kernel_grouped_conv_fwd_dl_multiple_dINS_32GridwiseGemmDlMultipleD_km_kn_mnILi256EDF16_fNS_5TupleIJDF16_EEEDF16_NS0_12element_wise11PassThroughES8_NS7_7AddReluELNS_25InMemoryDataOperationEnumE0ENS_16TensorDescriptorINS5_IJNS_5EmbedINS5_IJiiiEEESD_Lb0EEENS_11PassThroughIiEENS_3PadIiiiLb0EEESG_SG_NSC_INS5_IJiiEEESJ_Lb0EEESG_NS_23Merge_v2_magic_divisionISJ_EESM_NS_8RightPadIiiLb0EEESO_NS_7UnMergeISJ_Lb0EEESG_EEENS5_IJNS_8SequenceIJLi0EEEENSS_IJLi1EEEENSS_IJLi2EEEENSS_IJLi3EEEENSS_IJLi4EEEENSS_IJLi5EEEENSS_IJLi6EEEENSS_IJLi7ELi9EEEENSS_IJLi8ELi10EEEENSS_IJLi11EEEENSS_IJLi12EEEENSS_IJLi14EEEENSS_IJLi13EEEEEEENS5_IJNSS_IJLi1ELi2ELi3EEEESX_SY_SZ_NSS_IJLi7EEEENSS_IJLi8ELi9EEEENSS_IJLi10EEEES12_S13_S15_S14_NSS_IJLi15ELi16EEEENSS_IJLi17EEEEEEENSS_IJLi15ELi17ELi16EEEElEENSB_INS5_IJSQ_SO_SO_SQ_SG_EEENS5_IJST_SU_SV_SX_SW_EEENS5_IJNSS_IJLi1ELi2EEEESW_SX_NSS_IJLi5ELi6EEEES18_EEENSS_IJLi5ELi7ELi6EEEElEENSB_INS5_IJSK_SO_SO_EEENS5_IJST_SU_SV_EEENS5_IJS1I_SW_SX_EEENSS_IJLi3ELi4EEEElEELi128ELi128ELi16ELi2ELi4ELi4ELi1ENSS_IJLi8ELi2EEEES1S_NSS_IJLi8ELi1ELi1ELi2EEEENSS_IJLi2ELi1ELi128ELi1EEEENSS_IJLi1ELi2ELi0ELi3EEEES1V_NSS_IJLi4ELi1ELi1ELi2EEEES1V_NSS_IJLi1ELi1ELi1ELi2EEEES1T_S1U_S1V_S1V_S1W_S1V_S1X_NSS_IJLi0ELi1ELi2ELi3ELi4ELi5EEEELi5ELi4EEEDF16_NS5_IJPKDF16_EEEDF16_S8_S8_S9_NSB_INS5_IJSE_SG_SI_SG_SG_SK_SG_SM_SM_SO_SO_SQ_SG_SG_NSP_INS5_IJiNS_17integral_constantIiLi128EEEEEELb0EEENSF_INS23_IiLi2EEEEEEEENS5_IJST_SU_SV_SW_SX_SY_SZ_S10_S11_S12_S13_S14_S15_NSS_IJLi15EEEES1C_NSS_IJLi16EEEEEEENS5_IJS17_SX_SY_SZ_S18_S19_S1A_S12_S13_S15_S14_S1B_S1C_NSS_IJLi18EEEENSS_IJLi19ELi20EEEENSS_IJLi21EEEEEEENSS_IJLi18ELi19ELi20ELi21EEEElEENSB_INS5_IJSQ_SO_SO_SQ_SG_SG_S26_S28_EEENS5_IJST_SU_SV_SX_SW_SY_S18_SZ_EEENS5_IJS1I_SW_SX_S1J_S18_NSS_IJLi8EEEENSS_IJLi9ELi10EEEES12_EEENSS_IJLi8ELi9ELi10ELi11EEEElEENS5_IJNSB_INS5_IJSK_SO_SO_NSP_INS5_IJiS27_NS23_IiLi64EEEEEELb0EEES2S_EEENS5_IJST_SU_SV_SW_SX_EEENS5_IJS1I_SW_SX_NSS_IJLi5ELi6ELi7EEEENSS_IJLi8ELi9ELi10EEEEEEENSS_IJLi5ELi6ELi7ELi8ELi9ELi10EEEElEEEEES2Z_NS_31BlockToCTileMap_M00_N00_M01_N01ILi128ELi128ES1R_Lb0EEENS1_30ComputePtrOffsetOfStridedBatchILi1ELi1ELi1EvEELb0ELb1EEEvPKT0_S37_T1_PT2_T3_T4_T5_iT6_T7_T8_T9_T10_T11_,"axG",@progbits,_ZN2ck16tensor_operation6device12_GLOBAL__N_137kernel_grouped_conv_fwd_dl_multiple_dINS_32GridwiseGemmDlMultipleD_km_kn_mnILi256EDF16_fNS_5TupleIJDF16_EEEDF16_NS0_12element_wise11PassThroughES8_NS7_7AddReluELNS_25InMemoryDataOperationEnumE0ENS_16TensorDescriptorINS5_IJNS_5EmbedINS5_IJiiiEEESD_Lb0EEENS_11PassThroughIiEENS_3PadIiiiLb0EEESG_SG_NSC_INS5_IJiiEEESJ_Lb0EEESG_NS_23Merge_v2_magic_divisionISJ_EESM_NS_8RightPadIiiLb0EEESO_NS_7UnMergeISJ_Lb0EEESG_EEENS5_IJNS_8SequenceIJLi0EEEENSS_IJLi1EEEENSS_IJLi2EEEENSS_IJLi3EEEENSS_IJLi4EEEENSS_IJLi5EEEENSS_IJLi6EEEENSS_IJLi7ELi9EEEENSS_IJLi8ELi10EEEENSS_IJLi11EEEENSS_IJLi12EEEENSS_IJLi14EEEENSS_IJLi13EEEEEEENS5_IJNSS_IJLi1ELi2ELi3EEEESX_SY_SZ_NSS_IJLi7EEEENSS_IJLi8ELi9EEEENSS_IJLi10EEEES12_S13_S15_S14_NSS_IJLi15ELi16EEEENSS_IJLi17EEEEEEENSS_IJLi15ELi17ELi16EEEElEENSB_INS5_IJSQ_SO_SO_SQ_SG_EEENS5_IJST_SU_SV_SX_SW_EEENS5_IJNSS_IJLi1ELi2EEEESW_SX_NSS_IJLi5ELi6EEEES18_EEENSS_IJLi5ELi7ELi6EEEElEENSB_INS5_IJSK_SO_SO_EEENS5_IJST_SU_SV_EEENS5_IJS1I_SW_SX_EEENSS_IJLi3ELi4EEEElEELi128ELi128ELi16ELi2ELi4ELi4ELi1ENSS_IJLi8ELi2EEEES1S_NSS_IJLi8ELi1ELi1ELi2EEEENSS_IJLi2ELi1ELi128ELi1EEEENSS_IJLi1ELi2ELi0ELi3EEEES1V_NSS_IJLi4ELi1ELi1ELi2EEEES1V_NSS_IJLi1ELi1ELi1ELi2EEEES1T_S1U_S1V_S1V_S1W_S1V_S1X_NSS_IJLi0ELi1ELi2ELi3ELi4ELi5EEEELi5ELi4EEEDF16_NS5_IJPKDF16_EEEDF16_S8_S8_S9_NSB_INS5_IJSE_SG_SI_SG_SG_SK_SG_SM_SM_SO_SO_SQ_SG_SG_NSP_INS5_IJiNS_17integral_constantIiLi128EEEEEELb0EEENSF_INS23_IiLi2EEEEEEEENS5_IJST_SU_SV_SW_SX_SY_SZ_S10_S11_S12_S13_S14_S15_NSS_IJLi15EEEES1C_NSS_IJLi16EEEEEEENS5_IJS17_SX_SY_SZ_S18_S19_S1A_S12_S13_S15_S14_S1B_S1C_NSS_IJLi18EEEENSS_IJLi19ELi20EEEENSS_IJLi21EEEEEEENSS_IJLi18ELi19ELi20ELi21EEEElEENSB_INS5_IJSQ_SO_SO_SQ_SG_SG_S26_S28_EEENS5_IJST_SU_SV_SX_SW_SY_S18_SZ_EEENS5_IJS1I_SW_SX_S1J_S18_NSS_IJLi8EEEENSS_IJLi9ELi10EEEES12_EEENSS_IJLi8ELi9ELi10ELi11EEEElEENS5_IJNSB_INS5_IJSK_SO_SO_NSP_INS5_IJiS27_NS23_IiLi64EEEEEELb0EEES2S_EEENS5_IJST_SU_SV_SW_SX_EEENS5_IJS1I_SW_SX_NSS_IJLi5ELi6ELi7EEEENSS_IJLi8ELi9ELi10EEEEEEENSS_IJLi5ELi6ELi7ELi8ELi9ELi10EEEElEEEEES2Z_NS_31BlockToCTileMap_M00_N00_M01_N01ILi128ELi128ES1R_Lb0EEENS1_30ComputePtrOffsetOfStridedBatchILi1ELi1ELi1EvEELb0ELb1EEEvPKT0_S37_T1_PT2_T3_T4_T5_iT6_T7_T8_T9_T10_T11_,comdat
.Lfunc_end3:
	.size	_ZN2ck16tensor_operation6device12_GLOBAL__N_137kernel_grouped_conv_fwd_dl_multiple_dINS_32GridwiseGemmDlMultipleD_km_kn_mnILi256EDF16_fNS_5TupleIJDF16_EEEDF16_NS0_12element_wise11PassThroughES8_NS7_7AddReluELNS_25InMemoryDataOperationEnumE0ENS_16TensorDescriptorINS5_IJNS_5EmbedINS5_IJiiiEEESD_Lb0EEENS_11PassThroughIiEENS_3PadIiiiLb0EEESG_SG_NSC_INS5_IJiiEEESJ_Lb0EEESG_NS_23Merge_v2_magic_divisionISJ_EESM_NS_8RightPadIiiLb0EEESO_NS_7UnMergeISJ_Lb0EEESG_EEENS5_IJNS_8SequenceIJLi0EEEENSS_IJLi1EEEENSS_IJLi2EEEENSS_IJLi3EEEENSS_IJLi4EEEENSS_IJLi5EEEENSS_IJLi6EEEENSS_IJLi7ELi9EEEENSS_IJLi8ELi10EEEENSS_IJLi11EEEENSS_IJLi12EEEENSS_IJLi14EEEENSS_IJLi13EEEEEEENS5_IJNSS_IJLi1ELi2ELi3EEEESX_SY_SZ_NSS_IJLi7EEEENSS_IJLi8ELi9EEEENSS_IJLi10EEEES12_S13_S15_S14_NSS_IJLi15ELi16EEEENSS_IJLi17EEEEEEENSS_IJLi15ELi17ELi16EEEElEENSB_INS5_IJSQ_SO_SO_SQ_SG_EEENS5_IJST_SU_SV_SX_SW_EEENS5_IJNSS_IJLi1ELi2EEEESW_SX_NSS_IJLi5ELi6EEEES18_EEENSS_IJLi5ELi7ELi6EEEElEENSB_INS5_IJSK_SO_SO_EEENS5_IJST_SU_SV_EEENS5_IJS1I_SW_SX_EEENSS_IJLi3ELi4EEEElEELi128ELi128ELi16ELi2ELi4ELi4ELi1ENSS_IJLi8ELi2EEEES1S_NSS_IJLi8ELi1ELi1ELi2EEEENSS_IJLi2ELi1ELi128ELi1EEEENSS_IJLi1ELi2ELi0ELi3EEEES1V_NSS_IJLi4ELi1ELi1ELi2EEEES1V_NSS_IJLi1ELi1ELi1ELi2EEEES1T_S1U_S1V_S1V_S1W_S1V_S1X_NSS_IJLi0ELi1ELi2ELi3ELi4ELi5EEEELi5ELi4EEEDF16_NS5_IJPKDF16_EEEDF16_S8_S8_S9_NSB_INS5_IJSE_SG_SI_SG_SG_SK_SG_SM_SM_SO_SO_SQ_SG_SG_NSP_INS5_IJiNS_17integral_constantIiLi128EEEEEELb0EEENSF_INS23_IiLi2EEEEEEEENS5_IJST_SU_SV_SW_SX_SY_SZ_S10_S11_S12_S13_S14_S15_NSS_IJLi15EEEES1C_NSS_IJLi16EEEEEEENS5_IJS17_SX_SY_SZ_S18_S19_S1A_S12_S13_S15_S14_S1B_S1C_NSS_IJLi18EEEENSS_IJLi19ELi20EEEENSS_IJLi21EEEEEEENSS_IJLi18ELi19ELi20ELi21EEEElEENSB_INS5_IJSQ_SO_SO_SQ_SG_SG_S26_S28_EEENS5_IJST_SU_SV_SX_SW_SY_S18_SZ_EEENS5_IJS1I_SW_SX_S1J_S18_NSS_IJLi8EEEENSS_IJLi9ELi10EEEES12_EEENSS_IJLi8ELi9ELi10ELi11EEEElEENS5_IJNSB_INS5_IJSK_SO_SO_NSP_INS5_IJiS27_NS23_IiLi64EEEEEELb0EEES2S_EEENS5_IJST_SU_SV_SW_SX_EEENS5_IJS1I_SW_SX_NSS_IJLi5ELi6ELi7EEEENSS_IJLi8ELi9ELi10EEEEEEENSS_IJLi5ELi6ELi7ELi8ELi9ELi10EEEElEEEEES2Z_NS_31BlockToCTileMap_M00_N00_M01_N01ILi128ELi128ES1R_Lb0EEENS1_30ComputePtrOffsetOfStridedBatchILi1ELi1ELi1EvEELb0ELb1EEEvPKT0_S37_T1_PT2_T3_T4_T5_iT6_T7_T8_T9_T10_T11_, .Lfunc_end3-_ZN2ck16tensor_operation6device12_GLOBAL__N_137kernel_grouped_conv_fwd_dl_multiple_dINS_32GridwiseGemmDlMultipleD_km_kn_mnILi256EDF16_fNS_5TupleIJDF16_EEEDF16_NS0_12element_wise11PassThroughES8_NS7_7AddReluELNS_25InMemoryDataOperationEnumE0ENS_16TensorDescriptorINS5_IJNS_5EmbedINS5_IJiiiEEESD_Lb0EEENS_11PassThroughIiEENS_3PadIiiiLb0EEESG_SG_NSC_INS5_IJiiEEESJ_Lb0EEESG_NS_23Merge_v2_magic_divisionISJ_EESM_NS_8RightPadIiiLb0EEESO_NS_7UnMergeISJ_Lb0EEESG_EEENS5_IJNS_8SequenceIJLi0EEEENSS_IJLi1EEEENSS_IJLi2EEEENSS_IJLi3EEEENSS_IJLi4EEEENSS_IJLi5EEEENSS_IJLi6EEEENSS_IJLi7ELi9EEEENSS_IJLi8ELi10EEEENSS_IJLi11EEEENSS_IJLi12EEEENSS_IJLi14EEEENSS_IJLi13EEEEEEENS5_IJNSS_IJLi1ELi2ELi3EEEESX_SY_SZ_NSS_IJLi7EEEENSS_IJLi8ELi9EEEENSS_IJLi10EEEES12_S13_S15_S14_NSS_IJLi15ELi16EEEENSS_IJLi17EEEEEEENSS_IJLi15ELi17ELi16EEEElEENSB_INS5_IJSQ_SO_SO_SQ_SG_EEENS5_IJST_SU_SV_SX_SW_EEENS5_IJNSS_IJLi1ELi2EEEESW_SX_NSS_IJLi5ELi6EEEES18_EEENSS_IJLi5ELi7ELi6EEEElEENSB_INS5_IJSK_SO_SO_EEENS5_IJST_SU_SV_EEENS5_IJS1I_SW_SX_EEENSS_IJLi3ELi4EEEElEELi128ELi128ELi16ELi2ELi4ELi4ELi1ENSS_IJLi8ELi2EEEES1S_NSS_IJLi8ELi1ELi1ELi2EEEENSS_IJLi2ELi1ELi128ELi1EEEENSS_IJLi1ELi2ELi0ELi3EEEES1V_NSS_IJLi4ELi1ELi1ELi2EEEES1V_NSS_IJLi1ELi1ELi1ELi2EEEES1T_S1U_S1V_S1V_S1W_S1V_S1X_NSS_IJLi0ELi1ELi2ELi3ELi4ELi5EEEELi5ELi4EEEDF16_NS5_IJPKDF16_EEEDF16_S8_S8_S9_NSB_INS5_IJSE_SG_SI_SG_SG_SK_SG_SM_SM_SO_SO_SQ_SG_SG_NSP_INS5_IJiNS_17integral_constantIiLi128EEEEEELb0EEENSF_INS23_IiLi2EEEEEEEENS5_IJST_SU_SV_SW_SX_SY_SZ_S10_S11_S12_S13_S14_S15_NSS_IJLi15EEEES1C_NSS_IJLi16EEEEEEENS5_IJS17_SX_SY_SZ_S18_S19_S1A_S12_S13_S15_S14_S1B_S1C_NSS_IJLi18EEEENSS_IJLi19ELi20EEEENSS_IJLi21EEEEEEENSS_IJLi18ELi19ELi20ELi21EEEElEENSB_INS5_IJSQ_SO_SO_SQ_SG_SG_S26_S28_EEENS5_IJST_SU_SV_SX_SW_SY_S18_SZ_EEENS5_IJS1I_SW_SX_S1J_S18_NSS_IJLi8EEEENSS_IJLi9ELi10EEEES12_EEENSS_IJLi8ELi9ELi10ELi11EEEElEENS5_IJNSB_INS5_IJSK_SO_SO_NSP_INS5_IJiS27_NS23_IiLi64EEEEEELb0EEES2S_EEENS5_IJST_SU_SV_SW_SX_EEENS5_IJS1I_SW_SX_NSS_IJLi5ELi6ELi7EEEENSS_IJLi8ELi9ELi10EEEEEEENSS_IJLi5ELi6ELi7ELi8ELi9ELi10EEEElEEEEES2Z_NS_31BlockToCTileMap_M00_N00_M01_N01ILi128ELi128ES1R_Lb0EEENS1_30ComputePtrOffsetOfStridedBatchILi1ELi1ELi1EvEELb0ELb1EEEvPKT0_S37_T1_PT2_T3_T4_T5_iT6_T7_T8_T9_T10_T11_
                                        ; -- End function
	.section	.AMDGPU.csdata,"",@progbits
; Kernel info:
; codeLenInByte = 14944
; NumSgprs: 54
; NumVgprs: 183
; ScratchSize: 0
; MemoryBound: 0
; FloatMode: 240
; IeeeMode: 1
; LDSByteSize: 32768 bytes/workgroup (compile time only)
; SGPRBlocks: 6
; VGPRBlocks: 22
; NumSGPRsForWavesPerEU: 54
; NumVGPRsForWavesPerEU: 183
; Occupancy: 8
; WaveLimiterHint : 0
; COMPUTE_PGM_RSRC2:SCRATCH_EN: 0
; COMPUTE_PGM_RSRC2:USER_SGPR: 15
; COMPUTE_PGM_RSRC2:TRAP_HANDLER: 0
; COMPUTE_PGM_RSRC2:TGID_X_EN: 1
; COMPUTE_PGM_RSRC2:TGID_Y_EN: 0
; COMPUTE_PGM_RSRC2:TGID_Z_EN: 0
; COMPUTE_PGM_RSRC2:TIDIG_COMP_CNT: 0
	.section	.text._ZN2ck16tensor_operation6device12_GLOBAL__N_137kernel_grouped_conv_fwd_dl_multiple_dINS_32GridwiseGemmDlMultipleD_km_kn_mnILi256EDF16_fNS_5TupleIJDF16_EEEDF16_NS0_12element_wise11PassThroughES8_NS7_7AddReluELNS_25InMemoryDataOperationEnumE0ENS_16TensorDescriptorINS5_IJNS_5EmbedINS5_IJiiiEEESD_Lb0EEENS_11PassThroughIiEENS_3PadIiiiLb0EEESG_SG_NSC_INS5_IJiiEEESJ_Lb0EEESG_NS_23Merge_v2_magic_divisionISJ_EESM_NS_8RightPadIiiLb0EEESO_NS_7UnMergeISJ_Lb0EEESG_EEENS5_IJNS_8SequenceIJLi0EEEENSS_IJLi1EEEENSS_IJLi2EEEENSS_IJLi3EEEENSS_IJLi4EEEENSS_IJLi5EEEENSS_IJLi6EEEENSS_IJLi7ELi9EEEENSS_IJLi8ELi10EEEENSS_IJLi11EEEENSS_IJLi12EEEENSS_IJLi14EEEENSS_IJLi13EEEEEEENS5_IJNSS_IJLi1ELi2ELi3EEEESX_SY_SZ_NSS_IJLi7EEEENSS_IJLi8ELi9EEEENSS_IJLi10EEEES12_S13_S15_S14_NSS_IJLi15ELi16EEEENSS_IJLi17EEEEEEENSS_IJLi15ELi17ELi16EEEElEENSB_INS5_IJSQ_SO_SO_SQ_SG_EEENS5_IJST_SU_SV_SX_SW_EEENS5_IJNSS_IJLi1ELi2EEEESW_SX_NSS_IJLi5ELi6EEEES18_EEENSS_IJLi5ELi7ELi6EEEElEENSB_INS5_IJSK_SO_SO_EEENS5_IJST_SU_SV_EEENS5_IJS1I_SW_SX_EEENSS_IJLi3ELi4EEEElEELi128ELi128ELi16ELi2ELi4ELi4ELi1ENSS_IJLi8ELi2EEEES1S_NSS_IJLi8ELi1ELi1ELi2EEEENSS_IJLi2ELi1ELi128ELi1EEEENSS_IJLi1ELi2ELi0ELi3EEEES1V_NSS_IJLi4ELi1ELi1ELi2EEEES1V_NSS_IJLi1ELi1ELi1ELi2EEEES1T_S1U_S1V_S1V_S1W_S1V_S1X_NSS_IJLi0ELi1ELi2ELi3ELi4ELi5EEEELi5ELi4EEEDF16_NS5_IJPKDF16_EEEDF16_S8_S8_S9_NSB_INS5_IJSE_SG_SI_SG_SG_SK_SG_SM_SM_SO_SO_SQ_SG_SG_NSP_INS5_IJiNS_17integral_constantIiLi128EEEEEELb0EEENSF_INS23_IiLi2EEEEEEEENS5_IJST_SU_SV_SW_SX_SY_SZ_S10_S11_S12_S13_S14_S15_NSS_IJLi15EEEES1C_NSS_IJLi16EEEEEEENS5_IJS17_SX_SY_SZ_S18_S19_S1A_S12_S13_S15_S14_S1B_S1C_NSS_IJLi18EEEENSS_IJLi19ELi20EEEENSS_IJLi21EEEEEEENSS_IJLi18ELi19ELi20ELi21EEEElEENSB_INS5_IJSQ_SO_SO_SQ_SG_SG_S26_S28_EEENS5_IJST_SU_SV_SX_SW_SY_S18_SZ_EEENS5_IJS1I_SW_SX_S1J_S18_NSS_IJLi8EEEENSS_IJLi9ELi10EEEES12_EEENSS_IJLi8ELi9ELi10ELi11EEEElEENS5_IJNSB_INS5_IJSK_SO_SO_NSP_INS5_IJiS27_NS23_IiLi64EEEEEELb0EEES2S_EEENS5_IJST_SU_SV_SW_SX_EEENS5_IJS1I_SW_SX_NSS_IJLi5ELi6ELi7EEEENSS_IJLi8ELi9ELi10EEEEEEENSS_IJLi5ELi6ELi7ELi8ELi9ELi10EEEElEEEEES2Z_NS_31BlockToCTileMap_M00_N00_M01_N01ILi128ELi128ES1R_Lb0EEENS1_30ComputePtrOffsetOfStridedBatchILi1ELi1ELi1EvEELb0ELb0EEEvPKT0_S37_T1_PT2_T3_T4_T5_iT6_T7_T8_T9_T10_T11_,"axG",@progbits,_ZN2ck16tensor_operation6device12_GLOBAL__N_137kernel_grouped_conv_fwd_dl_multiple_dINS_32GridwiseGemmDlMultipleD_km_kn_mnILi256EDF16_fNS_5TupleIJDF16_EEEDF16_NS0_12element_wise11PassThroughES8_NS7_7AddReluELNS_25InMemoryDataOperationEnumE0ENS_16TensorDescriptorINS5_IJNS_5EmbedINS5_IJiiiEEESD_Lb0EEENS_11PassThroughIiEENS_3PadIiiiLb0EEESG_SG_NSC_INS5_IJiiEEESJ_Lb0EEESG_NS_23Merge_v2_magic_divisionISJ_EESM_NS_8RightPadIiiLb0EEESO_NS_7UnMergeISJ_Lb0EEESG_EEENS5_IJNS_8SequenceIJLi0EEEENSS_IJLi1EEEENSS_IJLi2EEEENSS_IJLi3EEEENSS_IJLi4EEEENSS_IJLi5EEEENSS_IJLi6EEEENSS_IJLi7ELi9EEEENSS_IJLi8ELi10EEEENSS_IJLi11EEEENSS_IJLi12EEEENSS_IJLi14EEEENSS_IJLi13EEEEEEENS5_IJNSS_IJLi1ELi2ELi3EEEESX_SY_SZ_NSS_IJLi7EEEENSS_IJLi8ELi9EEEENSS_IJLi10EEEES12_S13_S15_S14_NSS_IJLi15ELi16EEEENSS_IJLi17EEEEEEENSS_IJLi15ELi17ELi16EEEElEENSB_INS5_IJSQ_SO_SO_SQ_SG_EEENS5_IJST_SU_SV_SX_SW_EEENS5_IJNSS_IJLi1ELi2EEEESW_SX_NSS_IJLi5ELi6EEEES18_EEENSS_IJLi5ELi7ELi6EEEElEENSB_INS5_IJSK_SO_SO_EEENS5_IJST_SU_SV_EEENS5_IJS1I_SW_SX_EEENSS_IJLi3ELi4EEEElEELi128ELi128ELi16ELi2ELi4ELi4ELi1ENSS_IJLi8ELi2EEEES1S_NSS_IJLi8ELi1ELi1ELi2EEEENSS_IJLi2ELi1ELi128ELi1EEEENSS_IJLi1ELi2ELi0ELi3EEEES1V_NSS_IJLi4ELi1ELi1ELi2EEEES1V_NSS_IJLi1ELi1ELi1ELi2EEEES1T_S1U_S1V_S1V_S1W_S1V_S1X_NSS_IJLi0ELi1ELi2ELi3ELi4ELi5EEEELi5ELi4EEEDF16_NS5_IJPKDF16_EEEDF16_S8_S8_S9_NSB_INS5_IJSE_SG_SI_SG_SG_SK_SG_SM_SM_SO_SO_SQ_SG_SG_NSP_INS5_IJiNS_17integral_constantIiLi128EEEEEELb0EEENSF_INS23_IiLi2EEEEEEEENS5_IJST_SU_SV_SW_SX_SY_SZ_S10_S11_S12_S13_S14_S15_NSS_IJLi15EEEES1C_NSS_IJLi16EEEEEEENS5_IJS17_SX_SY_SZ_S18_S19_S1A_S12_S13_S15_S14_S1B_S1C_NSS_IJLi18EEEENSS_IJLi19ELi20EEEENSS_IJLi21EEEEEEENSS_IJLi18ELi19ELi20ELi21EEEElEENSB_INS5_IJSQ_SO_SO_SQ_SG_SG_S26_S28_EEENS5_IJST_SU_SV_SX_SW_SY_S18_SZ_EEENS5_IJS1I_SW_SX_S1J_S18_NSS_IJLi8EEEENSS_IJLi9ELi10EEEES12_EEENSS_IJLi8ELi9ELi10ELi11EEEElEENS5_IJNSB_INS5_IJSK_SO_SO_NSP_INS5_IJiS27_NS23_IiLi64EEEEEELb0EEES2S_EEENS5_IJST_SU_SV_SW_SX_EEENS5_IJS1I_SW_SX_NSS_IJLi5ELi6ELi7EEEENSS_IJLi8ELi9ELi10EEEEEEENSS_IJLi5ELi6ELi7ELi8ELi9ELi10EEEElEEEEES2Z_NS_31BlockToCTileMap_M00_N00_M01_N01ILi128ELi128ES1R_Lb0EEENS1_30ComputePtrOffsetOfStridedBatchILi1ELi1ELi1EvEELb0ELb0EEEvPKT0_S37_T1_PT2_T3_T4_T5_iT6_T7_T8_T9_T10_T11_,comdat
	.globl	_ZN2ck16tensor_operation6device12_GLOBAL__N_137kernel_grouped_conv_fwd_dl_multiple_dINS_32GridwiseGemmDlMultipleD_km_kn_mnILi256EDF16_fNS_5TupleIJDF16_EEEDF16_NS0_12element_wise11PassThroughES8_NS7_7AddReluELNS_25InMemoryDataOperationEnumE0ENS_16TensorDescriptorINS5_IJNS_5EmbedINS5_IJiiiEEESD_Lb0EEENS_11PassThroughIiEENS_3PadIiiiLb0EEESG_SG_NSC_INS5_IJiiEEESJ_Lb0EEESG_NS_23Merge_v2_magic_divisionISJ_EESM_NS_8RightPadIiiLb0EEESO_NS_7UnMergeISJ_Lb0EEESG_EEENS5_IJNS_8SequenceIJLi0EEEENSS_IJLi1EEEENSS_IJLi2EEEENSS_IJLi3EEEENSS_IJLi4EEEENSS_IJLi5EEEENSS_IJLi6EEEENSS_IJLi7ELi9EEEENSS_IJLi8ELi10EEEENSS_IJLi11EEEENSS_IJLi12EEEENSS_IJLi14EEEENSS_IJLi13EEEEEEENS5_IJNSS_IJLi1ELi2ELi3EEEESX_SY_SZ_NSS_IJLi7EEEENSS_IJLi8ELi9EEEENSS_IJLi10EEEES12_S13_S15_S14_NSS_IJLi15ELi16EEEENSS_IJLi17EEEEEEENSS_IJLi15ELi17ELi16EEEElEENSB_INS5_IJSQ_SO_SO_SQ_SG_EEENS5_IJST_SU_SV_SX_SW_EEENS5_IJNSS_IJLi1ELi2EEEESW_SX_NSS_IJLi5ELi6EEEES18_EEENSS_IJLi5ELi7ELi6EEEElEENSB_INS5_IJSK_SO_SO_EEENS5_IJST_SU_SV_EEENS5_IJS1I_SW_SX_EEENSS_IJLi3ELi4EEEElEELi128ELi128ELi16ELi2ELi4ELi4ELi1ENSS_IJLi8ELi2EEEES1S_NSS_IJLi8ELi1ELi1ELi2EEEENSS_IJLi2ELi1ELi128ELi1EEEENSS_IJLi1ELi2ELi0ELi3EEEES1V_NSS_IJLi4ELi1ELi1ELi2EEEES1V_NSS_IJLi1ELi1ELi1ELi2EEEES1T_S1U_S1V_S1V_S1W_S1V_S1X_NSS_IJLi0ELi1ELi2ELi3ELi4ELi5EEEELi5ELi4EEEDF16_NS5_IJPKDF16_EEEDF16_S8_S8_S9_NSB_INS5_IJSE_SG_SI_SG_SG_SK_SG_SM_SM_SO_SO_SQ_SG_SG_NSP_INS5_IJiNS_17integral_constantIiLi128EEEEEELb0EEENSF_INS23_IiLi2EEEEEEEENS5_IJST_SU_SV_SW_SX_SY_SZ_S10_S11_S12_S13_S14_S15_NSS_IJLi15EEEES1C_NSS_IJLi16EEEEEEENS5_IJS17_SX_SY_SZ_S18_S19_S1A_S12_S13_S15_S14_S1B_S1C_NSS_IJLi18EEEENSS_IJLi19ELi20EEEENSS_IJLi21EEEEEEENSS_IJLi18ELi19ELi20ELi21EEEElEENSB_INS5_IJSQ_SO_SO_SQ_SG_SG_S26_S28_EEENS5_IJST_SU_SV_SX_SW_SY_S18_SZ_EEENS5_IJS1I_SW_SX_S1J_S18_NSS_IJLi8EEEENSS_IJLi9ELi10EEEES12_EEENSS_IJLi8ELi9ELi10ELi11EEEElEENS5_IJNSB_INS5_IJSK_SO_SO_NSP_INS5_IJiS27_NS23_IiLi64EEEEEELb0EEES2S_EEENS5_IJST_SU_SV_SW_SX_EEENS5_IJS1I_SW_SX_NSS_IJLi5ELi6ELi7EEEENSS_IJLi8ELi9ELi10EEEEEEENSS_IJLi5ELi6ELi7ELi8ELi9ELi10EEEElEEEEES2Z_NS_31BlockToCTileMap_M00_N00_M01_N01ILi128ELi128ES1R_Lb0EEENS1_30ComputePtrOffsetOfStridedBatchILi1ELi1ELi1EvEELb0ELb0EEEvPKT0_S37_T1_PT2_T3_T4_T5_iT6_T7_T8_T9_T10_T11_ ; -- Begin function _ZN2ck16tensor_operation6device12_GLOBAL__N_137kernel_grouped_conv_fwd_dl_multiple_dINS_32GridwiseGemmDlMultipleD_km_kn_mnILi256EDF16_fNS_5TupleIJDF16_EEEDF16_NS0_12element_wise11PassThroughES8_NS7_7AddReluELNS_25InMemoryDataOperationEnumE0ENS_16TensorDescriptorINS5_IJNS_5EmbedINS5_IJiiiEEESD_Lb0EEENS_11PassThroughIiEENS_3PadIiiiLb0EEESG_SG_NSC_INS5_IJiiEEESJ_Lb0EEESG_NS_23Merge_v2_magic_divisionISJ_EESM_NS_8RightPadIiiLb0EEESO_NS_7UnMergeISJ_Lb0EEESG_EEENS5_IJNS_8SequenceIJLi0EEEENSS_IJLi1EEEENSS_IJLi2EEEENSS_IJLi3EEEENSS_IJLi4EEEENSS_IJLi5EEEENSS_IJLi6EEEENSS_IJLi7ELi9EEEENSS_IJLi8ELi10EEEENSS_IJLi11EEEENSS_IJLi12EEEENSS_IJLi14EEEENSS_IJLi13EEEEEEENS5_IJNSS_IJLi1ELi2ELi3EEEESX_SY_SZ_NSS_IJLi7EEEENSS_IJLi8ELi9EEEENSS_IJLi10EEEES12_S13_S15_S14_NSS_IJLi15ELi16EEEENSS_IJLi17EEEEEEENSS_IJLi15ELi17ELi16EEEElEENSB_INS5_IJSQ_SO_SO_SQ_SG_EEENS5_IJST_SU_SV_SX_SW_EEENS5_IJNSS_IJLi1ELi2EEEESW_SX_NSS_IJLi5ELi6EEEES18_EEENSS_IJLi5ELi7ELi6EEEElEENSB_INS5_IJSK_SO_SO_EEENS5_IJST_SU_SV_EEENS5_IJS1I_SW_SX_EEENSS_IJLi3ELi4EEEElEELi128ELi128ELi16ELi2ELi4ELi4ELi1ENSS_IJLi8ELi2EEEES1S_NSS_IJLi8ELi1ELi1ELi2EEEENSS_IJLi2ELi1ELi128ELi1EEEENSS_IJLi1ELi2ELi0ELi3EEEES1V_NSS_IJLi4ELi1ELi1ELi2EEEES1V_NSS_IJLi1ELi1ELi1ELi2EEEES1T_S1U_S1V_S1V_S1W_S1V_S1X_NSS_IJLi0ELi1ELi2ELi3ELi4ELi5EEEELi5ELi4EEEDF16_NS5_IJPKDF16_EEEDF16_S8_S8_S9_NSB_INS5_IJSE_SG_SI_SG_SG_SK_SG_SM_SM_SO_SO_SQ_SG_SG_NSP_INS5_IJiNS_17integral_constantIiLi128EEEEEELb0EEENSF_INS23_IiLi2EEEEEEEENS5_IJST_SU_SV_SW_SX_SY_SZ_S10_S11_S12_S13_S14_S15_NSS_IJLi15EEEES1C_NSS_IJLi16EEEEEEENS5_IJS17_SX_SY_SZ_S18_S19_S1A_S12_S13_S15_S14_S1B_S1C_NSS_IJLi18EEEENSS_IJLi19ELi20EEEENSS_IJLi21EEEEEEENSS_IJLi18ELi19ELi20ELi21EEEElEENSB_INS5_IJSQ_SO_SO_SQ_SG_SG_S26_S28_EEENS5_IJST_SU_SV_SX_SW_SY_S18_SZ_EEENS5_IJS1I_SW_SX_S1J_S18_NSS_IJLi8EEEENSS_IJLi9ELi10EEEES12_EEENSS_IJLi8ELi9ELi10ELi11EEEElEENS5_IJNSB_INS5_IJSK_SO_SO_NSP_INS5_IJiS27_NS23_IiLi64EEEEEELb0EEES2S_EEENS5_IJST_SU_SV_SW_SX_EEENS5_IJS1I_SW_SX_NSS_IJLi5ELi6ELi7EEEENSS_IJLi8ELi9ELi10EEEEEEENSS_IJLi5ELi6ELi7ELi8ELi9ELi10EEEElEEEEES2Z_NS_31BlockToCTileMap_M00_N00_M01_N01ILi128ELi128ES1R_Lb0EEENS1_30ComputePtrOffsetOfStridedBatchILi1ELi1ELi1EvEELb0ELb0EEEvPKT0_S37_T1_PT2_T3_T4_T5_iT6_T7_T8_T9_T10_T11_
	.p2align	8
	.type	_ZN2ck16tensor_operation6device12_GLOBAL__N_137kernel_grouped_conv_fwd_dl_multiple_dINS_32GridwiseGemmDlMultipleD_km_kn_mnILi256EDF16_fNS_5TupleIJDF16_EEEDF16_NS0_12element_wise11PassThroughES8_NS7_7AddReluELNS_25InMemoryDataOperationEnumE0ENS_16TensorDescriptorINS5_IJNS_5EmbedINS5_IJiiiEEESD_Lb0EEENS_11PassThroughIiEENS_3PadIiiiLb0EEESG_SG_NSC_INS5_IJiiEEESJ_Lb0EEESG_NS_23Merge_v2_magic_divisionISJ_EESM_NS_8RightPadIiiLb0EEESO_NS_7UnMergeISJ_Lb0EEESG_EEENS5_IJNS_8SequenceIJLi0EEEENSS_IJLi1EEEENSS_IJLi2EEEENSS_IJLi3EEEENSS_IJLi4EEEENSS_IJLi5EEEENSS_IJLi6EEEENSS_IJLi7ELi9EEEENSS_IJLi8ELi10EEEENSS_IJLi11EEEENSS_IJLi12EEEENSS_IJLi14EEEENSS_IJLi13EEEEEEENS5_IJNSS_IJLi1ELi2ELi3EEEESX_SY_SZ_NSS_IJLi7EEEENSS_IJLi8ELi9EEEENSS_IJLi10EEEES12_S13_S15_S14_NSS_IJLi15ELi16EEEENSS_IJLi17EEEEEEENSS_IJLi15ELi17ELi16EEEElEENSB_INS5_IJSQ_SO_SO_SQ_SG_EEENS5_IJST_SU_SV_SX_SW_EEENS5_IJNSS_IJLi1ELi2EEEESW_SX_NSS_IJLi5ELi6EEEES18_EEENSS_IJLi5ELi7ELi6EEEElEENSB_INS5_IJSK_SO_SO_EEENS5_IJST_SU_SV_EEENS5_IJS1I_SW_SX_EEENSS_IJLi3ELi4EEEElEELi128ELi128ELi16ELi2ELi4ELi4ELi1ENSS_IJLi8ELi2EEEES1S_NSS_IJLi8ELi1ELi1ELi2EEEENSS_IJLi2ELi1ELi128ELi1EEEENSS_IJLi1ELi2ELi0ELi3EEEES1V_NSS_IJLi4ELi1ELi1ELi2EEEES1V_NSS_IJLi1ELi1ELi1ELi2EEEES1T_S1U_S1V_S1V_S1W_S1V_S1X_NSS_IJLi0ELi1ELi2ELi3ELi4ELi5EEEELi5ELi4EEEDF16_NS5_IJPKDF16_EEEDF16_S8_S8_S9_NSB_INS5_IJSE_SG_SI_SG_SG_SK_SG_SM_SM_SO_SO_SQ_SG_SG_NSP_INS5_IJiNS_17integral_constantIiLi128EEEEEELb0EEENSF_INS23_IiLi2EEEEEEEENS5_IJST_SU_SV_SW_SX_SY_SZ_S10_S11_S12_S13_S14_S15_NSS_IJLi15EEEES1C_NSS_IJLi16EEEEEEENS5_IJS17_SX_SY_SZ_S18_S19_S1A_S12_S13_S15_S14_S1B_S1C_NSS_IJLi18EEEENSS_IJLi19ELi20EEEENSS_IJLi21EEEEEEENSS_IJLi18ELi19ELi20ELi21EEEElEENSB_INS5_IJSQ_SO_SO_SQ_SG_SG_S26_S28_EEENS5_IJST_SU_SV_SX_SW_SY_S18_SZ_EEENS5_IJS1I_SW_SX_S1J_S18_NSS_IJLi8EEEENSS_IJLi9ELi10EEEES12_EEENSS_IJLi8ELi9ELi10ELi11EEEElEENS5_IJNSB_INS5_IJSK_SO_SO_NSP_INS5_IJiS27_NS23_IiLi64EEEEEELb0EEES2S_EEENS5_IJST_SU_SV_SW_SX_EEENS5_IJS1I_SW_SX_NSS_IJLi5ELi6ELi7EEEENSS_IJLi8ELi9ELi10EEEEEEENSS_IJLi5ELi6ELi7ELi8ELi9ELi10EEEElEEEEES2Z_NS_31BlockToCTileMap_M00_N00_M01_N01ILi128ELi128ES1R_Lb0EEENS1_30ComputePtrOffsetOfStridedBatchILi1ELi1ELi1EvEELb0ELb0EEEvPKT0_S37_T1_PT2_T3_T4_T5_iT6_T7_T8_T9_T10_T11_,@function
_ZN2ck16tensor_operation6device12_GLOBAL__N_137kernel_grouped_conv_fwd_dl_multiple_dINS_32GridwiseGemmDlMultipleD_km_kn_mnILi256EDF16_fNS_5TupleIJDF16_EEEDF16_NS0_12element_wise11PassThroughES8_NS7_7AddReluELNS_25InMemoryDataOperationEnumE0ENS_16TensorDescriptorINS5_IJNS_5EmbedINS5_IJiiiEEESD_Lb0EEENS_11PassThroughIiEENS_3PadIiiiLb0EEESG_SG_NSC_INS5_IJiiEEESJ_Lb0EEESG_NS_23Merge_v2_magic_divisionISJ_EESM_NS_8RightPadIiiLb0EEESO_NS_7UnMergeISJ_Lb0EEESG_EEENS5_IJNS_8SequenceIJLi0EEEENSS_IJLi1EEEENSS_IJLi2EEEENSS_IJLi3EEEENSS_IJLi4EEEENSS_IJLi5EEEENSS_IJLi6EEEENSS_IJLi7ELi9EEEENSS_IJLi8ELi10EEEENSS_IJLi11EEEENSS_IJLi12EEEENSS_IJLi14EEEENSS_IJLi13EEEEEEENS5_IJNSS_IJLi1ELi2ELi3EEEESX_SY_SZ_NSS_IJLi7EEEENSS_IJLi8ELi9EEEENSS_IJLi10EEEES12_S13_S15_S14_NSS_IJLi15ELi16EEEENSS_IJLi17EEEEEEENSS_IJLi15ELi17ELi16EEEElEENSB_INS5_IJSQ_SO_SO_SQ_SG_EEENS5_IJST_SU_SV_SX_SW_EEENS5_IJNSS_IJLi1ELi2EEEESW_SX_NSS_IJLi5ELi6EEEES18_EEENSS_IJLi5ELi7ELi6EEEElEENSB_INS5_IJSK_SO_SO_EEENS5_IJST_SU_SV_EEENS5_IJS1I_SW_SX_EEENSS_IJLi3ELi4EEEElEELi128ELi128ELi16ELi2ELi4ELi4ELi1ENSS_IJLi8ELi2EEEES1S_NSS_IJLi8ELi1ELi1ELi2EEEENSS_IJLi2ELi1ELi128ELi1EEEENSS_IJLi1ELi2ELi0ELi3EEEES1V_NSS_IJLi4ELi1ELi1ELi2EEEES1V_NSS_IJLi1ELi1ELi1ELi2EEEES1T_S1U_S1V_S1V_S1W_S1V_S1X_NSS_IJLi0ELi1ELi2ELi3ELi4ELi5EEEELi5ELi4EEEDF16_NS5_IJPKDF16_EEEDF16_S8_S8_S9_NSB_INS5_IJSE_SG_SI_SG_SG_SK_SG_SM_SM_SO_SO_SQ_SG_SG_NSP_INS5_IJiNS_17integral_constantIiLi128EEEEEELb0EEENSF_INS23_IiLi2EEEEEEEENS5_IJST_SU_SV_SW_SX_SY_SZ_S10_S11_S12_S13_S14_S15_NSS_IJLi15EEEES1C_NSS_IJLi16EEEEEEENS5_IJS17_SX_SY_SZ_S18_S19_S1A_S12_S13_S15_S14_S1B_S1C_NSS_IJLi18EEEENSS_IJLi19ELi20EEEENSS_IJLi21EEEEEEENSS_IJLi18ELi19ELi20ELi21EEEElEENSB_INS5_IJSQ_SO_SO_SQ_SG_SG_S26_S28_EEENS5_IJST_SU_SV_SX_SW_SY_S18_SZ_EEENS5_IJS1I_SW_SX_S1J_S18_NSS_IJLi8EEEENSS_IJLi9ELi10EEEES12_EEENSS_IJLi8ELi9ELi10ELi11EEEElEENS5_IJNSB_INS5_IJSK_SO_SO_NSP_INS5_IJiS27_NS23_IiLi64EEEEEELb0EEES2S_EEENS5_IJST_SU_SV_SW_SX_EEENS5_IJS1I_SW_SX_NSS_IJLi5ELi6ELi7EEEENSS_IJLi8ELi9ELi10EEEEEEENSS_IJLi5ELi6ELi7ELi8ELi9ELi10EEEElEEEEES2Z_NS_31BlockToCTileMap_M00_N00_M01_N01ILi128ELi128ES1R_Lb0EEENS1_30ComputePtrOffsetOfStridedBatchILi1ELi1ELi1EvEELb0ELb0EEEvPKT0_S37_T1_PT2_T3_T4_T5_iT6_T7_T8_T9_T10_T11_: ; @_ZN2ck16tensor_operation6device12_GLOBAL__N_137kernel_grouped_conv_fwd_dl_multiple_dINS_32GridwiseGemmDlMultipleD_km_kn_mnILi256EDF16_fNS_5TupleIJDF16_EEEDF16_NS0_12element_wise11PassThroughES8_NS7_7AddReluELNS_25InMemoryDataOperationEnumE0ENS_16TensorDescriptorINS5_IJNS_5EmbedINS5_IJiiiEEESD_Lb0EEENS_11PassThroughIiEENS_3PadIiiiLb0EEESG_SG_NSC_INS5_IJiiEEESJ_Lb0EEESG_NS_23Merge_v2_magic_divisionISJ_EESM_NS_8RightPadIiiLb0EEESO_NS_7UnMergeISJ_Lb0EEESG_EEENS5_IJNS_8SequenceIJLi0EEEENSS_IJLi1EEEENSS_IJLi2EEEENSS_IJLi3EEEENSS_IJLi4EEEENSS_IJLi5EEEENSS_IJLi6EEEENSS_IJLi7ELi9EEEENSS_IJLi8ELi10EEEENSS_IJLi11EEEENSS_IJLi12EEEENSS_IJLi14EEEENSS_IJLi13EEEEEEENS5_IJNSS_IJLi1ELi2ELi3EEEESX_SY_SZ_NSS_IJLi7EEEENSS_IJLi8ELi9EEEENSS_IJLi10EEEES12_S13_S15_S14_NSS_IJLi15ELi16EEEENSS_IJLi17EEEEEEENSS_IJLi15ELi17ELi16EEEElEENSB_INS5_IJSQ_SO_SO_SQ_SG_EEENS5_IJST_SU_SV_SX_SW_EEENS5_IJNSS_IJLi1ELi2EEEESW_SX_NSS_IJLi5ELi6EEEES18_EEENSS_IJLi5ELi7ELi6EEEElEENSB_INS5_IJSK_SO_SO_EEENS5_IJST_SU_SV_EEENS5_IJS1I_SW_SX_EEENSS_IJLi3ELi4EEEElEELi128ELi128ELi16ELi2ELi4ELi4ELi1ENSS_IJLi8ELi2EEEES1S_NSS_IJLi8ELi1ELi1ELi2EEEENSS_IJLi2ELi1ELi128ELi1EEEENSS_IJLi1ELi2ELi0ELi3EEEES1V_NSS_IJLi4ELi1ELi1ELi2EEEES1V_NSS_IJLi1ELi1ELi1ELi2EEEES1T_S1U_S1V_S1V_S1W_S1V_S1X_NSS_IJLi0ELi1ELi2ELi3ELi4ELi5EEEELi5ELi4EEEDF16_NS5_IJPKDF16_EEEDF16_S8_S8_S9_NSB_INS5_IJSE_SG_SI_SG_SG_SK_SG_SM_SM_SO_SO_SQ_SG_SG_NSP_INS5_IJiNS_17integral_constantIiLi128EEEEEELb0EEENSF_INS23_IiLi2EEEEEEEENS5_IJST_SU_SV_SW_SX_SY_SZ_S10_S11_S12_S13_S14_S15_NSS_IJLi15EEEES1C_NSS_IJLi16EEEEEEENS5_IJS17_SX_SY_SZ_S18_S19_S1A_S12_S13_S15_S14_S1B_S1C_NSS_IJLi18EEEENSS_IJLi19ELi20EEEENSS_IJLi21EEEEEEENSS_IJLi18ELi19ELi20ELi21EEEElEENSB_INS5_IJSQ_SO_SO_SQ_SG_SG_S26_S28_EEENS5_IJST_SU_SV_SX_SW_SY_S18_SZ_EEENS5_IJS1I_SW_SX_S1J_S18_NSS_IJLi8EEEENSS_IJLi9ELi10EEEES12_EEENSS_IJLi8ELi9ELi10ELi11EEEElEENS5_IJNSB_INS5_IJSK_SO_SO_NSP_INS5_IJiS27_NS23_IiLi64EEEEEELb0EEES2S_EEENS5_IJST_SU_SV_SW_SX_EEENS5_IJS1I_SW_SX_NSS_IJLi5ELi6ELi7EEEENSS_IJLi8ELi9ELi10EEEEEEENSS_IJLi5ELi6ELi7ELi8ELi9ELi10EEEElEEEEES2Z_NS_31BlockToCTileMap_M00_N00_M01_N01ILi128ELi128ES1R_Lb0EEENS1_30ComputePtrOffsetOfStridedBatchILi1ELi1ELi1EvEELb0ELb0EEEvPKT0_S37_T1_PT2_T3_T4_T5_iT6_T7_T8_T9_T10_T11_
; %bb.0:
	s_clause 0x3
	s_load_b32 s2, s[0:1], 0x24
	s_load_b128 s[40:43], s[0:1], 0x234
	s_load_b32 s4, s[0:1], 0x288
	s_load_b128 s[36:39], s[0:1], 0x248
	v_lshrrev_b32_e32 v33, 1, v0
	v_mov_b32_e32 v48, 0
	v_lshrrev_b32_e32 v57, 5, v0
	v_dual_mov_b32 v47, 0 :: v_dual_mov_b32 v40, 0
	v_mov_b32_e32 v27, 0
	v_dual_mov_b32 v65, 0 :: v_dual_mov_b32 v58, 0
	v_dual_mov_b32 v41, 0 :: v_dual_mov_b32 v36, 0
	;; [unrolled: 1-line block ×5, first 2 shown]
	s_waitcnt lgkmcnt(0)
	s_abs_i32 s3, s2
	v_dual_mov_b32 v30, 0 :: v_dual_mov_b32 v45, 0
	v_cvt_f32_u32_e32 v1, s3
	s_sub_i32 s6, 0, s3
	s_abs_i32 s7, s4
	s_xor_b32 s2, s4, s2
	v_dual_mov_b32 v78, 0 :: v_dual_mov_b32 v77, 0
	v_rcp_iflag_f32_e32 v1, v1
	s_ashr_i32 s2, s2, 31
	v_dual_mov_b32 v44, 0 :: v_dual_mov_b32 v43, 0
	v_dual_mov_b32 v76, 0 :: v_dual_mov_b32 v73, 0
	;; [unrolled: 1-line block ×4, first 2 shown]
	s_waitcnt_depctr 0xfff
	v_dual_mul_f32 v1, 0x4f7ffffe, v1 :: v_dual_mov_b32 v68, 0
	v_dual_mov_b32 v35, 0 :: v_dual_mov_b32 v64, 0
	v_mov_b32_e32 v61, 0
	s_delay_alu instid0(VALU_DEP_3) | instskip(SKIP_2) | instid1(VALU_DEP_3)
	v_cvt_u32_f32_e32 v1, v1
	v_dual_mov_b32 v34, 0 :: v_dual_mov_b32 v17, 0
	v_dual_mov_b32 v62, 0 :: v_dual_mov_b32 v51, 0
	v_readfirstlane_b32 s5, v1
	v_dual_mov_b32 v16, 0 :: v_dual_mov_b32 v25, 0
	v_dual_mov_b32 v56, 0 :: v_dual_mov_b32 v49, 0
	s_delay_alu instid0(VALU_DEP_3)
	s_mul_i32 s6, s6, s5
	v_dual_mov_b32 v54, 0 :: v_dual_mov_b32 v31, 0
	s_mul_hi_u32 s6, s5, s6
	v_dual_mov_b32 v20, 0 :: v_dual_mov_b32 v75, 0
	s_add_i32 s5, s5, s6
	v_dual_mov_b32 v22, 0 :: v_dual_mov_b32 v19, 0
	s_mul_hi_u32 s5, s7, s5
	v_dual_mov_b32 v50, 0 :: v_dual_mov_b32 v69, 0
	s_mul_i32 s4, s5, s3
	s_add_i32 s6, s5, 1
	s_sub_i32 s4, s7, s4
	v_dual_mov_b32 v26, 0 :: v_dual_mov_b32 v67, 0
	s_sub_i32 s7, s4, s3
	s_cmp_ge_u32 s4, s3
	v_dual_mov_b32 v32, 0 :: v_dual_mov_b32 v21, 0
	s_cselect_b32 s5, s6, s5
	s_cselect_b32 s4, s7, s4
	s_add_i32 s6, s5, 1
	s_cmp_ge_u32 s4, s3
	v_dual_mov_b32 v74, 0 :: v_dual_mov_b32 v23, 0
	s_cselect_b32 s3, s6, s5
	s_abs_i32 s12, s15
	s_xor_b32 s3, s3, s2
	v_dual_mov_b32 v18, 0 :: v_dual_mov_b32 v63, 0
	s_sub_i32 s2, s3, s2
	v_mov_b32_e32 v24, 0
	s_abs_i32 s3, s2
	s_xor_b32 s2, s15, s2
	v_cvt_f32_u32_e32 v1, s3
	s_sub_i32 s5, 0, s3
	s_ashr_i32 s2, s2, 31
	v_dual_mov_b32 v71, 0 :: v_dual_mov_b32 v72, 0
	s_delay_alu instid0(VALU_DEP_2) | instskip(SKIP_4) | instid1(VALU_DEP_1)
	v_rcp_iflag_f32_e32 v1, v1
	v_mov_b32_e32 v46, 0
	v_mov_b32_e32 v66, 0
	s_waitcnt_depctr 0xfff
	v_dual_mov_b32 v60, 0 :: v_dual_mul_f32 v1, 0x4f7ffffe, v1
	v_cvt_u32_f32_e32 v1, v1
	s_delay_alu instid0(VALU_DEP_1) | instskip(SKIP_1) | instid1(VALU_DEP_2)
	v_readfirstlane_b32 s4, v1
	v_lshlrev_b32_e32 v1, 3, v0
	s_mul_i32 s5, s5, s4
	s_delay_alu instid0(VALU_DEP_1) | instskip(SKIP_1) | instid1(SALU_CYCLE_1)
	v_and_b32_e32 v80, 8, v1
	s_mul_hi_u32 s5, s4, s5
	s_add_i32 s13, s4, s5
	s_load_b256 s[4:11], s[0:1], 0x260
	s_mul_hi_u32 s13, s12, s13
	s_delay_alu instid0(SALU_CYCLE_1) | instskip(NEXT) | instid1(SALU_CYCLE_1)
	s_mul_i32 s14, s13, s3
	s_sub_i32 s12, s12, s14
	s_add_i32 s14, s13, 1
	s_sub_i32 s16, s12, s3
	s_cmp_ge_u32 s12, s3
	s_cselect_b32 s13, s14, s13
	s_cselect_b32 s12, s16, s12
	s_load_b256 s[16:23], s[0:1], 0x0
	s_add_i32 s14, s13, 1
	s_cmp_ge_u32 s12, s3
	s_cselect_b32 s3, s14, s13
	s_delay_alu instid0(SALU_CYCLE_1) | instskip(NEXT) | instid1(SALU_CYCLE_1)
	s_xor_b32 s3, s3, s2
	s_sub_i32 s14, s3, s2
	s_delay_alu instid0(SALU_CYCLE_1)
	s_ashr_i32 s3, s14, 31
	s_waitcnt lgkmcnt(0)
	s_mul_hi_u32 s13, s4, s14
	s_mul_i32 s2, s4, s14
	s_mul_hi_u32 s26, s8, s14
	s_mul_i32 s4, s4, s3
	s_mul_i32 s27, s6, s3
	;; [unrolled: 1-line block ×4, first 2 shown]
	s_mul_hi_u32 s24, s6, s14
	s_mul_i32 s9, s9, s14
	s_add_i32 s4, s13, s4
	s_add_i32 s13, s26, s3
	s_mul_hi_u32 s25, s10, s14
	s_mul_i32 s5, s5, s14
	s_mul_i32 s7, s7, s14
	;; [unrolled: 1-line block ×3, first 2 shown]
	s_add_i32 s8, s24, s27
	s_add_i32 s13, s13, s9
	s_mul_i32 s11, s11, s14
	s_add_i32 s24, s25, s28
	s_add_i32 s3, s4, s5
	;; [unrolled: 1-line block ×3, first 2 shown]
	s_lshl_b64 s[8:9], s[12:13], 1
	s_add_i32 s7, s24, s11
	s_add_u32 s20, s20, s8
	s_addc_u32 s21, s21, s9
	s_lshl_b64 s[2:3], s[2:3], 1
	s_mul_i32 s4, s6, s14
	s_add_u32 s16, s16, s2
	s_addc_u32 s17, s17, s3
	s_lshl_b64 s[2:3], s[4:5], 1
	s_mul_i32 s6, s10, s14
	s_add_u32 s24, s18, s2
	s_addc_u32 s25, s19, s3
	s_lshl_b64 s[2:3], s[6:7], 1
	s_mul_hi_u32 s4, s43, s15
	s_add_u32 s12, s22, s2
	s_addc_u32 s13, s23, s3
	s_add_i32 s2, s15, s4
	s_load_b128 s[28:31], s[0:1], 0x220
	s_lshr_b32 s14, s2, s39
	s_load_b32 s3, s[0:1], 0xc4
	s_mul_hi_u32 s2, s14, s42
	s_clause 0x3
	s_load_b32 s4, s[0:1], 0x78
	s_load_b32 s18, s[0:1], 0x80
	;; [unrolled: 1-line block ×4, first 2 shown]
	s_add_i32 s2, s14, s2
	s_load_b32 s39, s[0:1], 0x214
	s_lshr_b32 s26, s2, s38
	s_load_b32 s2, s[0:1], 0x204
	s_mul_hi_u32 s6, s26, s41
	s_clause 0x5
	s_load_b32 s34, s[0:1], 0xe8
	s_load_b32 s27, s[0:1], 0xf8
	;; [unrolled: 1-line block ×6, first 2 shown]
	s_add_i32 s6, s26, s6
	s_delay_alu instid0(SALU_CYCLE_1) | instskip(NEXT) | instid1(SALU_CYCLE_1)
	s_lshr_b32 s37, s6, s37
	s_mul_hi_u32 s6, s37, s40
	s_delay_alu instid0(SALU_CYCLE_1) | instskip(NEXT) | instid1(SALU_CYCLE_1)
	s_add_i32 s6, s37, s6
	s_lshr_b32 s6, s6, s36
	s_waitcnt lgkmcnt(0)
	s_mul_i32 s7, s26, s30
	s_mul_i32 s6, s6, s28
	s_clause 0x1
	s_load_b32 s30, s[0:1], 0x9c
	s_load_b32 s28, s[0:1], 0xa8
	v_mul_lo_u32 v88, s3, v80
	s_sub_i32 s6, s37, s6
	s_sub_i32 s7, s14, s7
	s_load_b32 s36, s[0:1], 0x70
	s_mul_i32 s6, s6, s2
	s_mul_i32 s37, s37, s29
	s_add_i32 s7, s7, s6
	s_mul_i32 s14, s14, s31
	s_lshl_b32 s22, s7, 7
	v_lshl_add_u32 v89, s3, 2, v88
	v_or_b32_e32 v90, s22, v33
	s_load_b64 s[2:3], s[0:1], 0x60
	v_mul_hi_u32 v1, v88, s5
	v_mul_lo_u32 v13, s35, v80
	v_mul_hi_u32 v2, v89, s5
	v_mul_hi_u32 v3, v90, s4
	s_load_b256 s[4:11], s[0:1], 0x34
	s_waitcnt lgkmcnt(0)
	s_sub_i32 s7, s26, s37
	s_sub_i32 s11, s15, s14
	s_mul_i32 s7, s7, s39
	v_add_nc_u32_e32 v1, v88, v1
	s_add_i32 s11, s11, s7
	v_add_nc_u32_e32 v2, v89, v2
	v_add_nc_u32_e32 v3, v90, v3
	s_lshl_b32 s15, s11, 7
	v_lshrrev_b32_e32 v4, s30, v1
	v_or_b32_e32 v92, s15, v33
	v_lshrrev_b32_e32 v5, s30, v2
	v_lshrrev_b32_e32 v6, s18, v3
	s_lshl_b32 s26, s38, 1
	v_mul_lo_u32 v2, v4, s19
	v_mul_lo_u32 v1, v4, s2
	v_sub_nc_u32_e32 v3, v5, v4
	v_mul_lo_u32 v4, v6, s36
	s_lshl_b32 s18, s34, 1
	v_mul_lo_u32 v6, v6, s4
	s_delay_alu instid0(VALU_DEP_3) | instskip(SKIP_3) | instid1(VALU_DEP_4)
	v_mul_lo_u32 v91, v3, s2
	v_sub_nc_u32_e32 v2, v88, v2
	s_lshl_b32 s4, s35, 2
	s_sub_i32 s8, s8, s10
	v_sub_nc_u32_e32 v4, v90, v4
	v_cmp_gt_i32_e64 s2, s33, v13
	v_mul_lo_u32 v7, v2, s6
	s_delay_alu instid0(VALU_DEP_3) | instskip(SKIP_2) | instid1(VALU_DEP_2)
	v_mad_u64_u32 v[14:15], null, v4, s3, v[1:2]
	v_mad_u64_u32 v[3:4], null, v5, s19, v[2:3]
	s_mov_b32 s19, 0x31004000
	v_mad_u64_u32 v[4:5], null, v92, s27, v[13:14]
	v_subrev_nc_u32_e32 v1, s9, v14
	v_mul_lo_u32 v5, v91, s5
	s_delay_alu instid0(VALU_DEP_4) | instskip(SKIP_1) | instid1(VALU_DEP_3)
	v_sub_nc_u32_e32 v8, v89, v3
	s_mov_b32 s27, s19
	v_mul_lo_u32 v11, v1, s5
	v_lshlrev_b32_e32 v2, 1, v4
	v_add_lshl_u32 v12, v4, s4, 1
	v_cmp_gt_i32_e64 s5, s8, v14
	v_mad_u64_u32 v[9:10], null, v8, s6, v[5:6]
	buffer_load_b128 v[1:4], v2, s[24:27], 0 offen
	v_add3_u32 v10, v6, v7, v11
	buffer_load_b128 v[5:8], v12, s[24:27], 0 offen
	v_lshlrev_b32_e32 v11, 1, v10
	v_add_lshl_u32 v15, v9, v10, 1
	s_clause 0x1
	buffer_load_b128 v[9:12], v11, s[16:19], 0 offen
	buffer_load_b128 v[84:87], v15, s[16:19], 0 offen
	v_lshlrev_b32_e32 v15, 1, v0
	s_clause 0x4
	s_load_b32 s3, s[0:1], 0xb4
	s_load_b64 s[16:17], s[0:1], 0x1a8
	s_load_b32 s11, s[0:1], 0x1b4
	s_load_b32 s18, s[0:1], 0x1c0
	;; [unrolled: 1-line block ×3, first 2 shown]
	v_add_nc_u32_e32 v13, s4, v13
	v_cmp_le_i32_e64 s4, s9, v14
	v_lshlrev_b32_e32 v0, 2, v0
	v_and_b32_e32 v29, 0x1f8, v15
	v_and_b32_e32 v15, 0x1fc, v15
	v_cmp_gt_i32_e64 s6, s33, v13
	s_and_b32 s5, s4, s5
	v_cmp_gt_i32_e64 s4, s28, v90
	s_delay_alu instid0(VALU_DEP_3) | instskip(NEXT) | instid1(VALU_DEP_1)
	v_sub_nc_u32_e32 v15, v15, v29
	v_lshl_add_u32 v83, v57, 3, v15
	v_add_nc_u32_e32 v15, v14, v91
	s_waitcnt lgkmcnt(0)
	v_cmp_gt_i32_e32 vcc_lo, s3, v88
	v_cmp_gt_i32_e64 s3, s3, v89
	s_lshl_b32 s14, s14, 1
	v_cmp_le_i32_e64 s7, s9, v15
	v_cmp_gt_i32_e64 s9, s23, v92
	s_and_b32 s5, vcc_lo, s5
	v_cmp_gt_i32_e64 s8, s8, v15
	s_mov_b32 s23, s19
	s_delay_alu instid0(VALU_DEP_2) | instskip(SKIP_1) | instid1(VALU_DEP_2)
	s_and_b32 vcc_lo, s2, s9
	v_lshlrev_b32_e32 v55, 6, v57
	s_and_b32 s7, s7, s8
	s_delay_alu instid0(SALU_CYCLE_1)
	s_and_b32 s2, s3, s7
	s_waitcnt vmcnt(3)
	v_cndmask_b32_e32 v2, 0, v2, vcc_lo
	v_sub_nc_u32_e32 v81, v29, v55
	v_dual_cndmask_b32 v4, 0, v4 :: v_dual_cndmask_b32 v3, 0, v3
	v_cndmask_b32_e32 v1, 0, v1, vcc_lo
	s_and_b32 vcc_lo, s6, s9
	s_waitcnt vmcnt(2)
	v_dual_cndmask_b32 v6, 0, v6 :: v_dual_lshlrev_b32 v93, 2, v33
	v_and_or_b32 v82, v0, 4, v81
	v_cndmask_b32_e32 v5, 0, v5, vcc_lo
	v_dual_mov_b32 v55, 0 :: v_dual_cndmask_b32 v8, 0, v8
	s_delay_alu instid0(VALU_DEP_4)
	v_lshl_or_b32 v0, v80, 9, v93
	v_cndmask_b32_e32 v7, 0, v7, vcc_lo
	s_and_b32 vcc_lo, s4, s5
	v_dual_mov_b32 v29, 0 :: v_dual_lshlrev_b32 v80, 2, v83
	v_mov_b32_e32 v57, 0
	v_mov_b32_e32 v33, 0
	ds_store_2addr_stride64_b32 v0, v1, v2 offset0:64 offset1:66
	ds_store_2addr_stride64_b32 v0, v3, v4 offset0:68 offset1:70
	;; [unrolled: 1-line block ×3, first 2 shown]
	s_waitcnt vmcnt(1)
	v_dual_cndmask_b32 v4, 0, v9 :: v_dual_cndmask_b32 v1, 0, v12
	v_dual_cndmask_b32 v2, 0, v11 :: v_dual_cndmask_b32 v3, 0, v10
	s_and_b32 vcc_lo, s4, s2
	s_waitcnt vmcnt(0)
	v_dual_cndmask_b32 v6, 0, v85 :: v_dual_lshlrev_b32 v81, 2, v82
	v_cndmask_b32_e32 v9, 0, v84, vcc_lo
	v_dual_cndmask_b32 v5, 0, v87 :: v_dual_cndmask_b32 v10, 0, v86
	ds_store_2addr_stride64_b32 v0, v7, v8 offset0:76 offset1:78
	ds_store_2addr_stride64_b32 v0, v4, v3 offset1:2
	ds_store_2addr_stride64_b32 v0, v2, v1 offset0:4 offset1:6
	ds_store_2addr_stride64_b32 v0, v9, v6 offset0:8 offset1:10
	;; [unrolled: 1-line block ×3, first 2 shown]
	s_waitcnt lgkmcnt(0)
	s_barrier
	buffer_gl0_inv
	ds_load_b128 v[12:15], v80
	ds_load_b128 v[84:87], v81 offset:16384
	s_clause 0x3
	s_load_b64 s[2:3], s[0:1], 0x158
	s_load_b32 s4, s[0:1], 0x164
	s_load_b32 s5, s[0:1], 0x170
	;; [unrolled: 1-line block ×3, first 2 shown]
	ds_load_b128 v[88:91], v81 offset:16640
	ds_load_b128 v[92:95], v80 offset:256
	;; [unrolled: 1-line block ×18, first 2 shown]
	v_add_nc_u32_e32 v82, s15, v82
	s_mov_b32 s15, s19
	s_waitcnt lgkmcnt(0)
	v_dual_dot2acc_f32_f16 v75, v92, v88 :: v_dual_dot2acc_f32_f16 v60, v94, v89
	v_dot2acc_f32_f16 v74, v92, v89
	v_dual_dot2acc_f32_f16 v18, v92, v90 :: v_dual_dot2acc_f32_f16 v69, v93, v88
	v_dual_dot2acc_f32_f16 v67, v93, v89 :: v_dual_dot2acc_f32_f16 v24, v95, v91
	s_delay_alu instid0(VALU_DEP_4) | instskip(NEXT) | instid1(VALU_DEP_4)
	v_dual_dot2acc_f32_f16 v75, v4, v0 :: v_dual_dot2acc_f32_f16 v60, v6, v1
	v_dot2acc_f32_f16 v74, v4, v1
	s_delay_alu instid0(VALU_DEP_4) | instskip(NEXT) | instid1(VALU_DEP_4)
	v_dual_dot2acc_f32_f16 v18, v4, v2 :: v_dual_dot2acc_f32_f16 v69, v5, v0
	v_dual_dot2acc_f32_f16 v67, v5, v1 :: v_dual_dot2acc_f32_f16 v24, v7, v3
	;; [unrolled: 1-line block ×3, first 2 shown]
	v_dot2acc_f32_f16 v72, v12, v85
	v_dot2acc_f32_f16 v46, v12, v86
	v_dual_dot2acc_f32_f16 v47, v12, v87 :: v_dual_dot2acc_f32_f16 v76, v13, v89
	v_dual_dot2acc_f32_f16 v65, v13, v84 :: v_dual_dot2acc_f32_f16 v78, v12, v89
	v_dot2acc_f32_f16 v66, v13, v85
	v_dot2acc_f32_f16 v40, v13, v86
	v_dual_dot2acc_f32_f16 v41, v13, v87 :: v_dual_dot2acc_f32_f16 v44, v12, v90
	v_dot2acc_f32_f16 v58, v14, v84
	v_dual_dot2acc_f32_f16 v59, v14, v85 :: v_dual_dot2acc_f32_f16 v42, v13, v90
	v_dot2acc_f32_f16 v36, v14, v86
	v_dot2acc_f32_f16 v38, v14, v87
	;; [unrolled: 1-line block ×3, first 2 shown]
	v_dual_dot2acc_f32_f16 v53, v15, v85 :: v_dual_dot2acc_f32_f16 v16, v92, v86
	v_dual_dot2acc_f32_f16 v28, v15, v86 :: v_dual_dot2acc_f32_f16 v79, v12, v88
	;; [unrolled: 1-line block ×3, first 2 shown]
	v_dot2acc_f32_f16 v68, v15, v88
	v_dual_dot2acc_f32_f16 v77, v13, v88 :: v_dual_dot2acc_f32_f16 v64, v15, v89
	v_dual_dot2acc_f32_f16 v43, v13, v91 :: v_dual_dot2acc_f32_f16 v34, v15, v90
	;; [unrolled: 1-line block ×11, first 2 shown]
	v_dot2acc_f32_f16 v31, v95, v86
	v_dual_dot2acc_f32_f16 v19, v92, v91 :: v_dual_dot2acc_f32_f16 v66, v97, v9
	v_dual_dot2acc_f32_f16 v21, v93, v90 :: v_dual_dot2acc_f32_f16 v72, v96, v9
	v_dual_dot2acc_f32_f16 v23, v93, v91 :: v_dual_dot2acc_f32_f16 v46, v96, v10
	v_dual_dot2acc_f32_f16 v63, v94, v88 :: v_dual_dot2acc_f32_f16 v40, v97, v10
	v_dual_dot2acc_f32_f16 v27, v94, v90 :: v_dual_dot2acc_f32_f16 v52, v99, v8
	v_dual_dot2acc_f32_f16 v29, v94, v91 :: v_dual_dot2acc_f32_f16 v28, v99, v10
	v_dual_dot2acc_f32_f16 v55, v95, v88 :: v_dual_dot2acc_f32_f16 v36, v98, v10
	v_dual_dot2acc_f32_f16 v57, v95, v89 :: v_dual_dot2acc_f32_f16 v58, v98, v8
	v_dual_dot2acc_f32_f16 v33, v95, v90 :: v_dual_dot2acc_f32_f16 v38, v98, v11
	v_dual_dot2acc_f32_f16 v71, v96, v8 :: v_dual_dot2acc_f32_f16 v30, v99, v11
	v_dual_dot2acc_f32_f16 v47, v96, v11 :: v_dual_dot2acc_f32_f16 v76, v97, v1
	v_dual_dot2acc_f32_f16 v65, v97, v8 :: v_dual_dot2acc_f32_f16 v78, v96, v1
	v_dual_dot2acc_f32_f16 v41, v97, v11 :: v_dual_dot2acc_f32_f16 v44, v96, v2
	v_dual_dot2acc_f32_f16 v59, v98, v9 :: v_dual_dot2acc_f32_f16 v42, v97, v2
	v_dual_dot2acc_f32_f16 v53, v99, v9 :: v_dual_dot2acc_f32_f16 v16, v4, v10
	v_dual_dot2acc_f32_f16 v79, v96, v0 :: v_dual_dot2acc_f32_f16 v70, v98, v1
	v_dual_dot2acc_f32_f16 v45, v96, v3 :: v_dual_dot2acc_f32_f16 v68, v99, v0
	v_dual_dot2acc_f32_f16 v77, v97, v0 :: v_dual_dot2acc_f32_f16 v64, v99, v1
	v_dual_dot2acc_f32_f16 v43, v97, v3 :: v_dual_dot2acc_f32_f16 v34, v99, v2
	v_dual_dot2acc_f32_f16 v73, v98, v0 :: v_dual_dot2acc_f32_f16 v62, v4, v9
	v_dual_dot2acc_f32_f16 v37, v98, v2 :: v_dual_dot2acc_f32_f16 v56, v5, v8
	v_dual_dot2acc_f32_f16 v39, v98, v3 :: v_dual_dot2acc_f32_f16 v54, v5, v9
	v_dual_dot2acc_f32_f16 v35, v99, v3 :: v_dual_dot2acc_f32_f16 v20, v5, v10
	v_dual_dot2acc_f32_f16 v61, v4, v8 :: v_dual_dot2acc_f32_f16 v22, v5, v11
	v_dual_dot2acc_f32_f16 v17, v4, v11 :: v_dual_dot2acc_f32_f16 v50, v6, v8
	v_dual_dot2acc_f32_f16 v51, v6, v9 :: v_dual_dot2acc_f32_f16 v32, v7, v11
	v_dual_dot2acc_f32_f16 v25, v6, v10 :: v_dual_dot2acc_f32_f16 v48, v7, v9
	v_dual_dot2acc_f32_f16 v26, v6, v11 :: v_dual_dot2acc_f32_f16 v49, v7, v8
	v_dot2acc_f32_f16 v31, v7, v10
	v_dual_dot2acc_f32_f16 v19, v4, v3 :: v_dual_dot2acc_f32_f16 v66, v109, v101
	v_dual_dot2acc_f32_f16 v21, v5, v2 :: v_dual_dot2acc_f32_f16 v72, v108, v101
	v_dual_dot2acc_f32_f16 v23, v5, v3 :: v_dual_dot2acc_f32_f16 v46, v108, v102
	v_dual_dot2acc_f32_f16 v63, v6, v0 :: v_dual_dot2acc_f32_f16 v40, v109, v102
	v_dual_dot2acc_f32_f16 v27, v6, v2 :: v_dual_dot2acc_f32_f16 v52, v111, v100
	v_dual_dot2acc_f32_f16 v29, v6, v3 :: v_dual_dot2acc_f32_f16 v28, v111, v102
	v_dual_dot2acc_f32_f16 v55, v7, v0 :: v_dual_dot2acc_f32_f16 v36, v110, v102
	v_dual_dot2acc_f32_f16 v57, v7, v1 :: v_dual_dot2acc_f32_f16 v58, v110, v100
	v_dual_dot2acc_f32_f16 v33, v7, v2 :: v_dual_dot2acc_f32_f16 v38, v110, v103
	ds_load_b128 v[0:3], v80 offset:2560
	ds_load_b128 v[12:15], v80 offset:2816
	;; [unrolled: 1-line block ×4, first 2 shown]
	v_dual_dot2acc_f32_f16 v71, v108, v100 :: v_dual_dot2acc_f32_f16 v30, v111, v103
	v_dual_dot2acc_f32_f16 v47, v108, v103 :: v_dual_dot2acc_f32_f16 v76, v109, v105
	;; [unrolled: 1-line block ×86, first 2 shown]
	s_waitcnt lgkmcnt(1)
	v_dual_dot2acc_f32_f16 v19, v144, v139 :: v_dual_dot2acc_f32_f16 v66, v1, v5
	v_dual_dot2acc_f32_f16 v67, v145, v137 :: v_dual_dot2acc_f32_f16 v24, v147, v139
	;; [unrolled: 1-line block ×11, first 2 shown]
	s_waitcnt lgkmcnt(0)
	v_dual_dot2acc_f32_f16 v47, v0, v7 :: v_dual_dot2acc_f32_f16 v76, v1, v9
	v_dual_dot2acc_f32_f16 v65, v1, v4 :: v_dual_dot2acc_f32_f16 v78, v0, v9
	;; [unrolled: 1-line block ×13, first 2 shown]
	ds_load_b128 v[0:3], v80 offset:3072
	v_dual_dot2acc_f32_f16 v61, v12, v4 :: v_dual_dot2acc_f32_f16 v22, v13, v7
	v_dual_dot2acc_f32_f16 v17, v12, v7 :: v_dual_dot2acc_f32_f16 v50, v14, v4
	;; [unrolled: 1-line block ×6, first 2 shown]
	ds_load_b128 v[84:87], v81 offset:19456
	ds_load_b128 v[4:7], v81 offset:19712
	v_dual_dot2acc_f32_f16 v75, v12, v8 :: v_dual_dot2acc_f32_f16 v60, v14, v9
	v_dual_dot2acc_f32_f16 v18, v12, v10 :: v_dual_dot2acc_f32_f16 v69, v13, v8
	v_dot2acc_f32_f16 v19, v12, v11
	v_dual_dot2acc_f32_f16 v67, v13, v9 :: v_dual_dot2acc_f32_f16 v24, v15, v11
	v_dot2acc_f32_f16 v21, v13, v10
	v_dot2acc_f32_f16 v23, v13, v11
	;; [unrolled: 1-line block ×8, first 2 shown]
	ds_load_b128 v[8:11], v80 offset:3328
	ds_load_b128 v[12:15], v81 offset:19968
	;; [unrolled: 1-line block ×3, first 2 shown]
	s_waitcnt lgkmcnt(4)
	v_dual_dot2acc_f32_f16 v71, v0, v84 :: v_dual_dot2acc_f32_f16 v30, v3, v87
	v_dot2acc_f32_f16 v72, v0, v85
	v_dot2acc_f32_f16 v46, v0, v86
	s_waitcnt lgkmcnt(3)
	v_dual_dot2acc_f32_f16 v47, v0, v87 :: v_dual_dot2acc_f32_f16 v76, v1, v5
	v_dual_dot2acc_f32_f16 v65, v1, v84 :: v_dual_dot2acc_f32_f16 v78, v0, v5
	v_dot2acc_f32_f16 v66, v1, v85
	v_dot2acc_f32_f16 v40, v1, v86
	v_dual_dot2acc_f32_f16 v41, v1, v87 :: v_dual_dot2acc_f32_f16 v44, v0, v6
	v_dot2acc_f32_f16 v58, v2, v84
	v_dual_dot2acc_f32_f16 v59, v2, v85 :: v_dual_dot2acc_f32_f16 v42, v1, v6
	v_dot2acc_f32_f16 v36, v2, v86
	v_dot2acc_f32_f16 v38, v2, v87
	;; [unrolled: 1-line block ×3, first 2 shown]
	s_waitcnt lgkmcnt(2)
	v_dual_dot2acc_f32_f16 v53, v3, v85 :: v_dual_dot2acc_f32_f16 v16, v8, v86
	v_dual_dot2acc_f32_f16 v28, v3, v86 :: v_dual_dot2acc_f32_f16 v79, v0, v4
	;; [unrolled: 1-line block ×3, first 2 shown]
	v_dot2acc_f32_f16 v68, v3, v4
	v_dual_dot2acc_f32_f16 v77, v1, v4 :: v_dual_dot2acc_f32_f16 v64, v3, v5
	v_dual_dot2acc_f32_f16 v43, v1, v7 :: v_dual_dot2acc_f32_f16 v34, v3, v6
	;; [unrolled: 1-line block ×6, first 2 shown]
	ds_load_b128 v[0:3], v80 offset:3584
	v_dual_dot2acc_f32_f16 v61, v8, v84 :: v_dual_dot2acc_f32_f16 v22, v9, v87
	v_dual_dot2acc_f32_f16 v17, v8, v87 :: v_dual_dot2acc_f32_f16 v50, v10, v84
	;; [unrolled: 1-line block ×9, first 2 shown]
	ds_load_b128 v[84:87], v81 offset:20224
	v_dot2acc_f32_f16 v19, v8, v7
	v_dot2acc_f32_f16 v21, v9, v6
	v_dot2acc_f32_f16 v23, v9, v7
	v_dot2acc_f32_f16 v63, v10, v4
	v_dot2acc_f32_f16 v27, v10, v6
	v_dot2acc_f32_f16 v29, v10, v7
	v_dot2acc_f32_f16 v55, v11, v4
	v_dot2acc_f32_f16 v57, v11, v5
	v_dot2acc_f32_f16 v33, v11, v6
	ds_load_b128 v[4:7], v80 offset:3840
	s_waitcnt lgkmcnt(2)
	v_dual_dot2acc_f32_f16 v38, v2, v15 :: v_dual_dot2acc_f32_f16 v71, v0, v12
	v_dot2acc_f32_f16 v30, v3, v15
	v_dot2acc_f32_f16 v72, v0, v13
	;; [unrolled: 1-line block ×7, first 2 shown]
	s_waitcnt lgkmcnt(1)
	v_dual_dot2acc_f32_f16 v78, v0, v85 :: v_dual_dot2acc_f32_f16 v41, v1, v15
	v_dot2acc_f32_f16 v44, v0, v86
	v_dot2acc_f32_f16 v58, v2, v12
	v_dual_dot2acc_f32_f16 v59, v2, v13 :: v_dual_dot2acc_f32_f16 v42, v1, v86
	v_dot2acc_f32_f16 v36, v2, v14
	v_dot2acc_f32_f16 v52, v3, v12
	;; [unrolled: 1-line block ×4, first 2 shown]
	s_waitcnt lgkmcnt(0)
	v_dot2acc_f32_f16 v16, v4, v14
	v_dual_dot2acc_f32_f16 v79, v0, v84 :: v_dual_dot2acc_f32_f16 v70, v2, v85
	v_dual_dot2acc_f32_f16 v45, v0, v87 :: v_dual_dot2acc_f32_f16 v68, v3, v84
	;; [unrolled: 1-line block ×3, first 2 shown]
	v_dot2acc_f32_f16 v76, v1, v85
	v_dual_dot2acc_f32_f16 v43, v1, v87 :: v_dual_dot2acc_f32_f16 v34, v3, v86
	v_dual_dot2acc_f32_f16 v73, v2, v84 :: v_dual_dot2acc_f32_f16 v62, v4, v13
	;; [unrolled: 1-line block ×5, first 2 shown]
	ds_load_b128 v[0:3], v80 offset:4096
	v_dual_dot2acc_f32_f16 v61, v4, v12 :: v_dual_dot2acc_f32_f16 v22, v5, v15
	v_dual_dot2acc_f32_f16 v17, v4, v15 :: v_dual_dot2acc_f32_f16 v50, v6, v12
	;; [unrolled: 1-line block ×6, first 2 shown]
	ds_load_b128 v[8:11], v81 offset:20480
	ds_load_b128 v[12:15], v81 offset:20736
	v_dual_dot2acc_f32_f16 v75, v4, v84 :: v_dual_dot2acc_f32_f16 v60, v6, v85
	v_dual_dot2acc_f32_f16 v18, v4, v86 :: v_dual_dot2acc_f32_f16 v69, v5, v84
	v_dot2acc_f32_f16 v19, v4, v87
	v_dual_dot2acc_f32_f16 v67, v5, v85 :: v_dual_dot2acc_f32_f16 v24, v7, v87
	v_dot2acc_f32_f16 v21, v5, v86
	v_dot2acc_f32_f16 v23, v5, v87
	;; [unrolled: 1-line block ×8, first 2 shown]
	ds_load_b128 v[4:7], v80 offset:4352
	ds_load_b128 v[84:87], v81 offset:20992
	v_cmp_gt_i32_e32 vcc_lo, s5, v82
	s_waitcnt lgkmcnt(3)
	v_dual_dot2acc_f32_f16 v71, v0, v8 :: v_dual_dot2acc_f32_f16 v30, v3, v11
	v_dot2acc_f32_f16 v72, v0, v9
	v_dot2acc_f32_f16 v46, v0, v10
	s_waitcnt lgkmcnt(2)
	v_dual_dot2acc_f32_f16 v47, v0, v11 :: v_dual_dot2acc_f32_f16 v76, v1, v13
	v_dual_dot2acc_f32_f16 v65, v1, v8 :: v_dual_dot2acc_f32_f16 v78, v0, v13
	v_dot2acc_f32_f16 v66, v1, v9
	v_dot2acc_f32_f16 v40, v1, v10
	v_dual_dot2acc_f32_f16 v41, v1, v11 :: v_dual_dot2acc_f32_f16 v44, v0, v14
	v_dot2acc_f32_f16 v58, v2, v8
	v_dual_dot2acc_f32_f16 v59, v2, v9 :: v_dual_dot2acc_f32_f16 v42, v1, v14
	v_dot2acc_f32_f16 v36, v2, v10
	v_dot2acc_f32_f16 v38, v2, v11
	;; [unrolled: 1-line block ×3, first 2 shown]
	s_waitcnt lgkmcnt(1)
	v_dual_dot2acc_f32_f16 v53, v3, v9 :: v_dual_dot2acc_f32_f16 v16, v4, v10
	v_dual_dot2acc_f32_f16 v28, v3, v10 :: v_dual_dot2acc_f32_f16 v79, v0, v12
	;; [unrolled: 1-line block ×3, first 2 shown]
	v_dot2acc_f32_f16 v68, v3, v12
	v_dual_dot2acc_f32_f16 v77, v1, v12 :: v_dual_dot2acc_f32_f16 v64, v3, v13
	v_dual_dot2acc_f32_f16 v43, v1, v15 :: v_dual_dot2acc_f32_f16 v34, v3, v14
	;; [unrolled: 1-line block ×6, first 2 shown]
	ds_load_b128 v[0:3], v80 offset:4608
	v_dual_dot2acc_f32_f16 v61, v4, v8 :: v_dual_dot2acc_f32_f16 v22, v5, v11
	v_dual_dot2acc_f32_f16 v17, v4, v11 :: v_dual_dot2acc_f32_f16 v50, v6, v8
	;; [unrolled: 1-line block ×9, first 2 shown]
	ds_load_b128 v[8:11], v81 offset:21248
	v_dot2acc_f32_f16 v19, v4, v15
	v_dot2acc_f32_f16 v21, v5, v14
	;; [unrolled: 1-line block ×9, first 2 shown]
	ds_load_b128 v[4:7], v80 offset:4864
	s_waitcnt lgkmcnt(2)
	v_dual_dot2acc_f32_f16 v38, v2, v87 :: v_dual_dot2acc_f32_f16 v71, v0, v84
	v_dot2acc_f32_f16 v30, v3, v87
	v_dot2acc_f32_f16 v72, v0, v85
	;; [unrolled: 1-line block ×7, first 2 shown]
	s_waitcnt lgkmcnt(1)
	v_dual_dot2acc_f32_f16 v78, v0, v9 :: v_dual_dot2acc_f32_f16 v41, v1, v87
	v_dot2acc_f32_f16 v44, v0, v10
	v_dot2acc_f32_f16 v58, v2, v84
	v_dual_dot2acc_f32_f16 v59, v2, v85 :: v_dual_dot2acc_f32_f16 v42, v1, v10
	v_dot2acc_f32_f16 v36, v2, v86
	v_dot2acc_f32_f16 v52, v3, v84
	;; [unrolled: 1-line block ×4, first 2 shown]
	s_waitcnt lgkmcnt(0)
	v_dot2acc_f32_f16 v16, v4, v86
	v_dual_dot2acc_f32_f16 v79, v0, v8 :: v_dual_dot2acc_f32_f16 v70, v2, v9
	v_dual_dot2acc_f32_f16 v45, v0, v11 :: v_dual_dot2acc_f32_f16 v68, v3, v8
	;; [unrolled: 1-line block ×3, first 2 shown]
	v_dot2acc_f32_f16 v76, v1, v9
	v_dual_dot2acc_f32_f16 v43, v1, v11 :: v_dual_dot2acc_f32_f16 v34, v3, v10
	v_dual_dot2acc_f32_f16 v73, v2, v8 :: v_dual_dot2acc_f32_f16 v62, v4, v85
	;; [unrolled: 1-line block ×5, first 2 shown]
	ds_load_b128 v[0:3], v80 offset:5120
	v_dual_dot2acc_f32_f16 v61, v4, v84 :: v_dual_dot2acc_f32_f16 v22, v5, v87
	v_dual_dot2acc_f32_f16 v17, v4, v87 :: v_dual_dot2acc_f32_f16 v50, v6, v84
	;; [unrolled: 1-line block ×9, first 2 shown]
	ds_load_b128 v[84:87], v81 offset:21760
	v_dot2acc_f32_f16 v21, v5, v10
	v_dot2acc_f32_f16 v23, v5, v11
	;; [unrolled: 1-line block ×8, first 2 shown]
	ds_load_b128 v[5:8], v80 offset:5376
	s_waitcnt lgkmcnt(2)
	v_dot2acc_f32_f16 v38, v2, v91
	v_dual_dot2acc_f32_f16 v19, v4, v11 :: v_dual_dot2acc_f32_f16 v66, v1, v89
	v_dual_dot2acc_f32_f16 v71, v0, v88 :: v_dual_dot2acc_f32_f16 v30, v3, v91
	v_dot2acc_f32_f16 v72, v0, v89
	v_dot2acc_f32_f16 v46, v0, v90
	;; [unrolled: 1-line block ×5, first 2 shown]
	s_waitcnt lgkmcnt(1)
	v_dual_dot2acc_f32_f16 v78, v0, v85 :: v_dual_dot2acc_f32_f16 v41, v1, v91
	v_dot2acc_f32_f16 v44, v0, v86
	v_dot2acc_f32_f16 v58, v2, v88
	v_dual_dot2acc_f32_f16 v59, v2, v89 :: v_dual_dot2acc_f32_f16 v42, v1, v86
	v_dot2acc_f32_f16 v36, v2, v90
	v_dot2acc_f32_f16 v52, v3, v88
	s_waitcnt lgkmcnt(0)
	v_dual_dot2acc_f32_f16 v53, v3, v89 :: v_dual_dot2acc_f32_f16 v16, v5, v90
	v_dual_dot2acc_f32_f16 v28, v3, v90 :: v_dual_dot2acc_f32_f16 v79, v0, v84
	;; [unrolled: 1-line block ×3, first 2 shown]
	v_dot2acc_f32_f16 v68, v3, v84
	v_dual_dot2acc_f32_f16 v77, v1, v84 :: v_dual_dot2acc_f32_f16 v64, v3, v85
	v_dot2acc_f32_f16 v76, v1, v85
	v_dual_dot2acc_f32_f16 v43, v1, v87 :: v_dual_dot2acc_f32_f16 v34, v3, v86
	v_dual_dot2acc_f32_f16 v73, v2, v84 :: v_dual_dot2acc_f32_f16 v62, v5, v89
	;; [unrolled: 1-line block ×5, first 2 shown]
	ds_load_b128 v[0:3], v80 offset:5632
	v_dual_dot2acc_f32_f16 v25, v7, v90 :: v_dual_dot2acc_f32_f16 v32, v8, v91
	v_dual_dot2acc_f32_f16 v26, v7, v91 :: v_dual_dot2acc_f32_f16 v49, v8, v88
	v_dual_dot2acc_f32_f16 v31, v8, v90 :: v_dual_dot2acc_f32_f16 v74, v5, v85
	ds_load_b128 v[12:15], v81 offset:22016
	v_dual_dot2acc_f32_f16 v67, v6, v85 :: v_dual_dot2acc_f32_f16 v24, v8, v87
	v_dot2acc_f32_f16 v55, v8, v84
	v_dot2acc_f32_f16 v57, v8, v85
	v_dot2acc_f32_f16 v33, v8, v86
	ds_load_b128 v[8:11], v80 offset:5888
	v_dual_dot2acc_f32_f16 v61, v5, v88 :: v_dual_dot2acc_f32_f16 v54, v6, v89
	v_dual_dot2acc_f32_f16 v17, v5, v91 :: v_dual_dot2acc_f32_f16 v20, v6, v90
	;; [unrolled: 1-line block ×5, first 2 shown]
	v_dot2acc_f32_f16 v19, v5, v87
	v_dot2acc_f32_f16 v21, v6, v86
	;; [unrolled: 1-line block ×6, first 2 shown]
	ds_load_b128 v[4:7], v81 offset:22272
	s_waitcnt lgkmcnt(2)
	v_dual_dot2acc_f32_f16 v36, v2, v14 :: v_dual_add_nc_u32 v83, s22, v83
	s_waitcnt lgkmcnt(1)
	v_dot2acc_f32_f16 v48, v11, v13
	v_dot2acc_f32_f16 v51, v10, v13
	;; [unrolled: 1-line block ×3, first 2 shown]
	v_dual_dot2acc_f32_f16 v53, v3, v13 :: v_dual_dot2acc_f32_f16 v16, v8, v14
	v_mul_lo_u32 v84, v83, s2
	v_dual_dot2acc_f32_f16 v61, v8, v12 :: v_dual_dot2acc_f32_f16 v22, v9, v15
	v_dot2acc_f32_f16 v62, v8, v13
	v_dual_dot2acc_f32_f16 v17, v8, v15 :: v_dual_dot2acc_f32_f16 v50, v10, v12
	v_dot2acc_f32_f16 v31, v11, v14
	s_lshl_b32 s22, s0, 1
	v_mad_u64_u32 v[85:86], null, v82, s3, v[84:85]
	s_lshl_b32 s0, s3, 6
	v_dual_dot2acc_f32_f16 v71, v0, v12 :: v_dual_dot2acc_f32_f16 v28, v3, v14
	s_waitcnt lgkmcnt(0)
	v_dot2acc_f32_f16 v73, v2, v4
	v_dot2acc_f32_f16 v75, v8, v4
	v_dot2acc_f32_f16 v74, v8, v5
	v_dual_dot2acc_f32_f16 v18, v8, v6 :: v_dual_dot2acc_f32_f16 v69, v9, v4
	v_dual_dot2acc_f32_f16 v19, v8, v7 :: v_dual_dot2acc_f32_f16 v60, v10, v5
	v_lshlrev_b32_e32 v8, 1, v85
	v_dot2acc_f32_f16 v46, v0, v14
	v_dual_dot2acc_f32_f16 v47, v0, v15 :: v_dual_dot2acc_f32_f16 v76, v1, v5
	v_dual_dot2acc_f32_f16 v65, v1, v12 :: v_dual_dot2acc_f32_f16 v78, v0, v5
	buffer_load_b64 v[88:89], v8, s[20:23], 0 offen
	v_dot2acc_f32_f16 v66, v1, v13
	v_dot2acc_f32_f16 v40, v1, v14
	v_dual_dot2acc_f32_f16 v41, v1, v15 :: v_dual_dot2acc_f32_f16 v44, v0, v6
	v_dot2acc_f32_f16 v58, v2, v12
	v_dual_dot2acc_f32_f16 v59, v2, v13 :: v_dual_dot2acc_f32_f16 v42, v1, v6
	v_dot2acc_f32_f16 v38, v2, v15
	v_dot2acc_f32_f16 v52, v3, v12
	v_dual_dot2acc_f32_f16 v30, v3, v15 :: v_dual_dot2acc_f32_f16 v79, v0, v4
	v_dual_dot2acc_f32_f16 v70, v2, v5 :: v_dual_dot2acc_f32_f16 v45, v0, v7
	v_dot2acc_f32_f16 v68, v3, v4
	v_dual_dot2acc_f32_f16 v77, v1, v4 :: v_dual_dot2acc_f32_f16 v64, v3, v5
	v_dual_dot2acc_f32_f16 v43, v1, v7 :: v_dual_dot2acc_f32_f16 v34, v3, v6
	;; [unrolled: 1-line block ×5, first 2 shown]
	ds_load_b128 v[0:3], v80 offset:6144
	v_dual_dot2acc_f32_f16 v25, v10, v14 :: v_dual_dot2acc_f32_f16 v32, v11, v15
	v_dual_dot2acc_f32_f16 v26, v10, v15 :: v_dual_dot2acc_f32_f16 v49, v11, v12
	ds_load_b128 v[12:15], v81 offset:22528
	v_add_lshl_u32 v8, v85, s0, 1
	v_dual_dot2acc_f32_f16 v21, v9, v6 :: v_dual_add_nc_u32 v84, s2, v85
	v_dual_dot2acc_f32_f16 v67, v9, v5 :: v_dual_dot2acc_f32_f16 v24, v11, v7
	buffer_load_b64 v[90:91], v8, s[20:23], 0 offen
	v_dot2acc_f32_f16 v23, v9, v7
	v_lshlrev_b32_e32 v85, 1, v84
	v_dot2acc_f32_f16 v63, v10, v4
	v_dot2acc_f32_f16 v27, v10, v6
	;; [unrolled: 1-line block ×6, first 2 shown]
	ds_load_b128 v[4:7], v81 offset:22784
	ds_load_b128 v[8:11], v80 offset:6400
	s_waitcnt lgkmcnt(2)
	v_dot2acc_f32_f16 v38, v2, v15
	v_dot2acc_f32_f16 v28, v3, v14
	buffer_load_b64 v[92:93], v85, s[20:23], 0 offen
	v_add_lshl_u32 v85, v84, s0, 1
	v_dual_dot2acc_f32_f16 v41, v1, v15 :: v_dual_add_nc_u32 v84, s2, v84
	v_dual_dot2acc_f32_f16 v71, v0, v12 :: v_dual_dot2acc_f32_f16 v30, v3, v15
	buffer_load_b64 v[94:95], v85, s[20:23], 0 offen
	v_dot2acc_f32_f16 v72, v0, v13
	v_dot2acc_f32_f16 v46, v0, v14
	v_dual_dot2acc_f32_f16 v47, v0, v15 :: v_dual_dot2acc_f32_f16 v52, v3, v12
	s_waitcnt lgkmcnt(1)
	v_dual_dot2acc_f32_f16 v65, v1, v12 :: v_dual_dot2acc_f32_f16 v78, v0, v5
	v_dual_dot2acc_f32_f16 v59, v2, v13 :: v_dual_dot2acc_f32_f16 v44, v0, v6
	;; [unrolled: 1-line block ×3, first 2 shown]
	v_dual_dot2acc_f32_f16 v70, v2, v5 :: v_dual_lshlrev_b32 v85, 1, v84
	v_dual_dot2acc_f32_f16 v45, v0, v7 :: v_dual_dot2acc_f32_f16 v68, v3, v4
	v_add_lshl_u32 v0, v84, s0, 1
	buffer_load_b64 v[96:97], v85, s[20:23], 0 offen
	v_dual_dot2acc_f32_f16 v43, v1, v7 :: v_dual_add_nc_u32 v84, s2, v84
	s_waitcnt lgkmcnt(0)
	v_dot2acc_f32_f16 v20, v9, v14
	buffer_load_b64 v[98:99], v0, s[20:23], 0 offen
	v_dual_dot2acc_f32_f16 v37, v2, v6 :: v_dual_dot2acc_f32_f16 v62, v8, v13
	v_lshlrev_b32_e32 v85, 1, v84
	v_dual_dot2acc_f32_f16 v39, v2, v7 :: v_dual_dot2acc_f32_f16 v16, v8, v14
	v_dual_dot2acc_f32_f16 v61, v8, v12 :: v_dual_dot2acc_f32_f16 v54, v9, v13
	buffer_load_b64 v[100:101], v85, s[20:23], 0 offen
	v_add_lshl_u32 v85, v84, s0, 1
	v_dual_dot2acc_f32_f16 v17, v8, v15 :: v_dual_dot2acc_f32_f16 v50, v10, v12
	v_dual_dot2acc_f32_f16 v32, v11, v15 :: v_dual_dot2acc_f32_f16 v75, v8, v4
	buffer_load_b64 v[102:103], v85, s[20:23], 0 offen
	v_mad_u64_u32 v[85:86], null, s2, 61, v[84:85]
	v_dual_dot2acc_f32_f16 v31, v11, v14 :: v_dual_dot2acc_f32_f16 v74, v8, v5
	v_dual_dot2acc_f32_f16 v69, v9, v4 :: v_dual_dot2acc_f32_f16 v18, v8, v6
	v_dot2acc_f32_f16 v67, v9, v5
	v_dual_dot2acc_f32_f16 v19, v8, v7 :: v_dual_dot2acc_f32_f16 v60, v10, v5
	v_lshlrev_b32_e32 v84, 1, v85
	v_add_lshl_u32 v8, v85, s0, 1
	v_dot2acc_f32_f16 v66, v1, v13
	v_dot2acc_f32_f16 v40, v1, v14
	;; [unrolled: 1-line block ×3, first 2 shown]
	s_clause 0x1
	buffer_load_b64 v[104:105], v84, s[20:23], 0 offen
	buffer_load_b64 v[106:107], v8, s[20:23], 0 offen
	v_dual_dot2acc_f32_f16 v36, v2, v14 :: v_dual_dot2acc_f32_f16 v53, v3, v13
	v_dot2acc_f32_f16 v42, v1, v6
	v_dual_dot2acc_f32_f16 v77, v1, v4 :: v_dual_dot2acc_f32_f16 v64, v3, v5
	v_dual_dot2acc_f32_f16 v73, v2, v4 :: v_dual_dot2acc_f32_f16 v34, v3, v6
	;; [unrolled: 1-line block ×3, first 2 shown]
	ds_load_b128 v[0:3], v80 offset:6656
	v_dual_dot2acc_f32_f16 v22, v9, v15 :: v_dual_dot2acc_f32_f16 v51, v10, v13
	v_dual_dot2acc_f32_f16 v25, v10, v14 :: v_dual_dot2acc_f32_f16 v48, v11, v13
	v_dual_dot2acc_f32_f16 v26, v10, v15 :: v_dual_dot2acc_f32_f16 v49, v11, v12
	ds_load_b128 v[12:15], v81 offset:23040
	v_dual_dot2acc_f32_f16 v21, v9, v6 :: v_dual_add_nc_u32 v84, s2, v85
	v_dot2acc_f32_f16 v23, v9, v7
	v_dual_dot2acc_f32_f16 v63, v10, v4 :: v_dual_dot2acc_f32_f16 v24, v11, v7
	v_dot2acc_f32_f16 v27, v10, v6
	v_dot2acc_f32_f16 v29, v10, v7
	;; [unrolled: 1-line block ×5, first 2 shown]
	ds_load_b128 v[4:7], v81 offset:23296
	ds_load_b128 v[8:11], v80 offset:6912
	s_waitcnt lgkmcnt(2)
	v_dual_dot2acc_f32_f16 v36, v2, v14 :: v_dual_lshlrev_b32 v85, 1, v84
	buffer_load_b64 v[108:109], v85, s[20:23], 0 offen
	v_add_lshl_u32 v85, v84, s0, 1
	v_add_nc_u32_e32 v84, s2, v84
	v_dual_dot2acc_f32_f16 v71, v0, v12 :: v_dual_dot2acc_f32_f16 v38, v2, v15
	v_dot2acc_f32_f16 v72, v0, v13
	buffer_load_b64 v[110:111], v85, s[20:23], 0 offen
	v_dual_dot2acc_f32_f16 v46, v0, v14 :: v_dual_lshlrev_b32 v85, 1, v84
	v_dual_dot2acc_f32_f16 v47, v0, v15 :: v_dual_dot2acc_f32_f16 v52, v3, v12
	s_waitcnt lgkmcnt(1)
	v_dot2acc_f32_f16 v44, v0, v6
	buffer_load_b64 v[112:113], v85, s[20:23], 0 offen
	v_dual_dot2acc_f32_f16 v41, v1, v15 :: v_dual_dot2acc_f32_f16 v78, v0, v5
	v_dual_dot2acc_f32_f16 v79, v0, v4 :: v_dual_dot2acc_f32_f16 v76, v1, v5
	;; [unrolled: 1-line block ×3, first 2 shown]
	v_add_lshl_u32 v0, v84, s0, 1
	v_dual_dot2acc_f32_f16 v37, v2, v6 :: v_dual_add_nc_u32 v84, s2, v84
	s_waitcnt lgkmcnt(0)
	v_dot2acc_f32_f16 v20, v9, v14
	v_dual_dot2acc_f32_f16 v65, v1, v12 :: v_dual_dot2acc_f32_f16 v28, v3, v14
	buffer_load_b64 v[114:115], v0, s[20:23], 0 offen
	v_lshlrev_b32_e32 v85, 1, v84
	v_add_lshl_u32 v84, v84, s0, 1
	v_dot2acc_f32_f16 v66, v1, v13
	v_dot2acc_f32_f16 v40, v1, v14
	;; [unrolled: 1-line block ×3, first 2 shown]
	s_clause 0x1
	buffer_load_b64 v[116:117], v85, s[20:23], 0 offen
	buffer_load_b64 v[118:119], v84, s[20:23], 0 offen
	v_dual_dot2acc_f32_f16 v59, v2, v13 :: v_dual_dot2acc_f32_f16 v30, v3, v15
	v_dual_dot2acc_f32_f16 v53, v3, v13 :: v_dual_dot2acc_f32_f16 v42, v1, v6
	;; [unrolled: 1-line block ×7, first 2 shown]
	ds_load_b128 v[0:3], v80 offset:7168
	v_dual_dot2acc_f32_f16 v61, v8, v12 :: v_dual_dot2acc_f32_f16 v54, v9, v13
	v_dual_dot2acc_f32_f16 v17, v8, v15 :: v_dual_dot2acc_f32_f16 v56, v9, v12
	;; [unrolled: 1-line block ×6, first 2 shown]
	ds_load_b128 v[84:87], v81 offset:23552
	v_dual_dot2acc_f32_f16 v32, v11, v15 :: v_dual_dot2acc_f32_f16 v75, v8, v4
	v_dual_dot2acc_f32_f16 v74, v8, v5 :: v_dual_dot2acc_f32_f16 v69, v9, v4
	;; [unrolled: 1-line block ×5, first 2 shown]
	ds_load_b128 v[12:15], v81 offset:23808
	v_dot2acc_f32_f16 v23, v9, v7
	v_dot2acc_f32_f16 v63, v10, v4
	;; [unrolled: 1-line block ×7, first 2 shown]
	ds_load_b128 v[4:7], v80 offset:7424
	s_waitcnt lgkmcnt(2)
	v_dual_dot2acc_f32_f16 v38, v2, v87 :: v_dual_dot2acc_f32_f16 v71, v0, v84
	v_dot2acc_f32_f16 v28, v3, v86
	v_dot2acc_f32_f16 v72, v0, v85
	;; [unrolled: 1-line block ×3, first 2 shown]
	v_dual_dot2acc_f32_f16 v47, v0, v87 :: v_dual_dot2acc_f32_f16 v52, v3, v84
	v_dual_dot2acc_f32_f16 v65, v1, v84 :: v_dual_dot2acc_f32_f16 v30, v3, v87
	v_dot2acc_f32_f16 v66, v1, v85
	v_dot2acc_f32_f16 v40, v1, v86
	s_waitcnt lgkmcnt(1)
	v_dual_dot2acc_f32_f16 v41, v1, v87 :: v_dual_dot2acc_f32_f16 v78, v0, v13
	v_dot2acc_f32_f16 v58, v2, v84
	v_dual_dot2acc_f32_f16 v59, v2, v85 :: v_dual_dot2acc_f32_f16 v44, v0, v14
	v_dual_dot2acc_f32_f16 v36, v2, v86 :: v_dual_dot2acc_f32_f16 v53, v3, v85
	;; [unrolled: 1-line block ×6, first 2 shown]
	v_dot2acc_f32_f16 v68, v3, v12
	v_dual_dot2acc_f32_f16 v73, v2, v12 :: v_dual_dot2acc_f32_f16 v34, v3, v14
	s_waitcnt lgkmcnt(0)
	v_dual_dot2acc_f32_f16 v37, v2, v14 :: v_dual_dot2acc_f32_f16 v62, v4, v85
	v_dual_dot2acc_f32_f16 v39, v2, v15 :: v_dual_dot2acc_f32_f16 v16, v4, v86
	;; [unrolled: 1-line block ×3, first 2 shown]
	ds_load_b128 v[0:3], v80 offset:7680
	v_dual_dot2acc_f32_f16 v61, v4, v84 :: v_dual_dot2acc_f32_f16 v54, v5, v85
	v_dual_dot2acc_f32_f16 v17, v4, v87 :: v_dual_dot2acc_f32_f16 v20, v5, v86
	;; [unrolled: 1-line block ×6, first 2 shown]
	ds_load_b128 v[8:11], v81 offset:24064
	v_dual_dot2acc_f32_f16 v32, v7, v87 :: v_dual_dot2acc_f32_f16 v75, v4, v12
	ds_load_b128 v[84:87], v81 offset:24320
	v_cmp_gt_i32_e64 s0, s4, v83
	v_dual_dot2acc_f32_f16 v19, v4, v15 :: v_dual_dot2acc_f32_f16 v60, v6, v13
	v_dual_dot2acc_f32_f16 v21, v5, v14 :: v_dual_dot2acc_f32_f16 v24, v7, v15
	v_dot2acc_f32_f16 v23, v5, v15
	v_dot2acc_f32_f16 v29, v6, v15
	v_dual_dot2acc_f32_f16 v74, v4, v13 :: v_dual_add_nc_u32 v15, 64, v82
	v_dual_dot2acc_f32_f16 v69, v5, v12 :: v_dual_dot2acc_f32_f16 v18, v4, v14
	v_dot2acc_f32_f16 v67, v5, v13
	v_dot2acc_f32_f16 v63, v6, v12
	;; [unrolled: 1-line block ×6, first 2 shown]
	ds_load_b128 v[4:7], v80 offset:7936
	s_waitcnt lgkmcnt(2)
	v_dot2acc_f32_f16 v38, v2, v11
	s_and_b32 s1, s0, vcc_lo
	v_dual_dot2acc_f32_f16 v71, v0, v8 :: v_dual_dot2acc_f32_f16 v28, v3, v10
	v_dot2acc_f32_f16 v72, v0, v9
	v_dot2acc_f32_f16 v46, v0, v10
	v_dual_dot2acc_f32_f16 v47, v0, v11 :: v_dual_dot2acc_f32_f16 v52, v3, v8
	s_waitcnt lgkmcnt(1)
	v_dual_dot2acc_f32_f16 v41, v1, v11 :: v_dual_dot2acc_f32_f16 v78, v0, v85
	v_dual_dot2acc_f32_f16 v59, v2, v9 :: v_dual_dot2acc_f32_f16 v44, v0, v86
	;; [unrolled: 1-line block ×4, first 2 shown]
	v_dot2acc_f32_f16 v58, v2, v8
	v_dot2acc_f32_f16 v36, v2, v10
	v_dual_dot2acc_f32_f16 v73, v2, v84 :: v_dual_dot2acc_f32_f16 v34, v3, v86
	s_waitcnt lgkmcnt(0)
	v_dual_dot2acc_f32_f16 v37, v2, v86 :: v_dual_dot2acc_f32_f16 v62, v4, v9
	v_dual_dot2acc_f32_f16 v39, v2, v87 :: v_dual_dot2acc_f32_f16 v16, v4, v10
	s_waitcnt vmcnt(15)
	v_cndmask_b32_e64 v12, 0, v89, s1
	v_cndmask_b32_e64 v0, 0, v88, s1
	v_cmp_gt_i32_e64 s1, s5, v15
	v_or_b32_e32 v81, 1, v83
	v_dual_dot2acc_f32_f16 v65, v1, v8 :: v_dual_dot2acc_f32_f16 v30, v3, v11
	v_dot2acc_f32_f16 v66, v1, v9
	s_delay_alu instid0(VALU_DEP_4)
	s_and_b32 s0, s0, s1
	v_dual_dot2acc_f32_f16 v40, v1, v10 :: v_dual_dot2acc_f32_f16 v53, v3, v9
	v_dot2acc_f32_f16 v42, v1, v86
	v_dual_dot2acc_f32_f16 v77, v1, v84 :: v_dual_dot2acc_f32_f16 v64, v3, v85
	v_dual_dot2acc_f32_f16 v43, v1, v87 :: v_dual_dot2acc_f32_f16 v68, v3, v84
	;; [unrolled: 1-line block ×3, first 2 shown]
	v_lshrrev_b32_e32 v1, 16, v0
	v_cvt_f32_f16_e32 v0, v0
	v_dot2acc_f32_f16 v23, v5, v87
	v_dual_dot2acc_f32_f16 v61, v4, v8 :: v_dual_dot2acc_f32_f16 v54, v5, v9
	v_dual_dot2acc_f32_f16 v17, v4, v11 :: v_dual_dot2acc_f32_f16 v20, v5, v10
	s_delay_alu instid0(VALU_DEP_4)
	v_add_f32_e32 v0, v71, v0
	v_dual_dot2acc_f32_f16 v32, v7, v11 :: v_dual_dot2acc_f32_f16 v75, v4, v84
	v_dual_dot2acc_f32_f16 v74, v4, v85 :: v_dual_dot2acc_f32_f16 v69, v5, v84
	;; [unrolled: 1-line block ×4, first 2 shown]
	v_dual_dot2acc_f32_f16 v27, v6, v86 :: v_dual_max_f32 v14, 0, v0
	v_cvt_f32_f16_e32 v1, v1
	s_waitcnt vmcnt(14)
	v_cndmask_b32_e64 v2, 0, v90, s0
	v_cndmask_b32_e64 v80, 0, v91, s0
	v_cmp_gt_i32_e64 s0, s4, v81
	v_dual_dot2acc_f32_f16 v21, v5, v86 :: v_dual_dot2acc_f32_f16 v24, v7, v87
	s_delay_alu instid0(VALU_DEP_4) | instskip(SKIP_1) | instid1(VALU_DEP_4)
	v_cvt_f32_f16_e32 v3, v2
	v_lshrrev_b32_e32 v2, 16, v2
	s_and_b32 s2, s0, vcc_lo
	v_add_f32_e32 v1, v72, v1
	v_dot2acc_f32_f16 v63, v6, v84
	s_and_b32 s0, s0, s1
	v_cvt_f32_f16_e32 v2, v2
	v_dot2acc_f32_f16 v55, v7, v84
	v_dual_add_f32 v3, v79, v3 :: v_dual_max_f32 v72, 0, v1
	v_or_b32_e32 v88, 3, v83
	s_waitcnt vmcnt(13)
	v_cndmask_b32_e64 v4, 0, v92, s2
	s_delay_alu instid0(VALU_DEP_3) | instskip(SKIP_2) | instid1(VALU_DEP_3)
	v_dual_add_f32 v0, v78, v2 :: v_dual_max_f32 v79, 0, v3
	v_cndmask_b32_e64 v71, 0, v93, s2
	v_dual_dot2acc_f32_f16 v22, v5, v11 :: v_dual_dot2acc_f32_f16 v51, v6, v9
	v_max_f32_e32 v84, 0, v0
	v_cvt_f32_f16_e32 v0, v4
	s_waitcnt vmcnt(12)
	v_cndmask_b32_e64 v2, 0, v94, s0
	v_dot2acc_f32_f16 v29, v6, v87
	v_lshrrev_b32_e32 v1, 16, v4
	v_cndmask_b32_e64 v78, 0, v95, s0
	v_dual_add_f32 v0, v65, v0 :: v_dual_dot2acc_f32_f16 v57, v7, v85
	v_or_b32_e32 v85, 2, v83
	v_cvt_f32_f16_e32 v3, v2
	v_lshrrev_b32_e32 v2, 16, v2
	v_cvt_f32_f16_e32 v1, v1
	v_dual_dot2acc_f32_f16 v50, v6, v8 :: v_dual_dot2acc_f32_f16 v31, v7, v10
	v_cmp_gt_i32_e64 s0, s4, v85
	s_delay_alu instid0(VALU_DEP_4) | instskip(NEXT) | instid1(VALU_DEP_4)
	v_cvt_f32_f16_e32 v2, v2
	v_add_f32_e32 v1, v66, v1
	v_dual_add_f32 v3, v77, v3 :: v_dual_max_f32 v66, 0, v0
	s_delay_alu instid0(VALU_DEP_4)
	s_and_b32 s2, s0, vcc_lo
	s_and_b32 s0, s0, s1
	s_waitcnt vmcnt(11)
	v_cndmask_b32_e64 v4, 0, v96, s2
	v_add_f32_e32 v0, v76, v2
	s_waitcnt vmcnt(10)
	v_cndmask_b32_e64 v2, 0, v98, s0
	v_dual_dot2acc_f32_f16 v33, v7, v86 :: v_dual_max_f32 v86, 0, v3
	v_max_f32_e32 v77, 0, v1
	v_lshrrev_b32_e32 v1, 16, v4
	v_max_f32_e32 v87, 0, v0
	v_cvt_f32_f16_e32 v0, v4
	v_cvt_f32_f16_e32 v3, v2
	v_lshrrev_b32_e32 v2, 16, v2
	v_cvt_f32_f16_e32 v1, v1
	v_cndmask_b32_e64 v76, 0, v99, s0
	v_add_f32_e32 v0, v58, v0
	v_cmp_gt_i32_e64 s0, s4, v88
	v_cvt_f32_f16_e32 v2, v2
	v_add_f32_e32 v1, v59, v1
	v_cndmask_b32_e64 v65, 0, v97, s2
	v_max_f32_e32 v59, 0, v0
	s_and_b32 s2, s0, vcc_lo
	v_dual_add_f32 v0, v70, v2 :: v_dual_add_f32 v3, v73, v3
	s_waitcnt vmcnt(9)
	v_cndmask_b32_e64 v4, 0, v100, s2
	s_and_b32 s0, s0, s1
	v_cndmask_b32_e64 v58, 0, v101, s2
	v_max_f32_e32 v90, 0, v0
	v_add_nc_u32_e32 v0, 64, v83
	s_waitcnt vmcnt(8)
	v_cndmask_b32_e64 v70, 0, v103, s0
	v_cndmask_b32_e64 v2, 0, v102, s0
	v_max_f32_e32 v89, 0, v3
	v_cvt_f32_f16_e32 v3, v4
	v_cmp_gt_i32_e64 s0, s4, v0
	v_dual_dot2acc_f32_f16 v25, v6, v10 :: v_dual_dot2acc_f32_f16 v48, v7, v9
	v_dual_dot2acc_f32_f16 v26, v6, v11 :: v_dual_dot2acc_f32_f16 v49, v7, v8
	s_delay_alu instid0(VALU_DEP_3)
	s_and_b32 s2, s0, vcc_lo
	v_max_f32_e32 v73, 0, v1
	v_lshrrev_b32_e32 v1, 16, v4
	v_cvt_f32_f16_e32 v4, v2
	v_lshrrev_b32_e32 v2, 16, v2
	v_add_f32_e32 v3, v52, v3
	s_waitcnt vmcnt(7)
	v_cndmask_b32_e64 v6, 0, v104, s2
	v_cvt_f32_f16_e32 v1, v1
	v_add_f32_e32 v4, v68, v4
	v_cvt_f32_f16_e32 v2, v2
	v_max_f32_e32 v52, 0, v3
	v_lshrrev_b32_e32 v3, 16, v6
	s_and_b32 s0, s0, s1
	v_max_f32_e32 v68, 0, v4
	v_add_f32_e32 v2, v64, v2
	v_add_nc_u32_e32 v4, 0x41, v83
	v_cvt_f32_f16_e32 v3, v3
	v_add_f32_e32 v5, v53, v1
	s_waitcnt vmcnt(6)
	v_cndmask_b32_e64 v7, 0, v106, s0
	v_max_f32_e32 v64, 0, v2
	v_cvt_f32_f16_e32 v2, v6
	v_dual_add_f32 v8, v62, v3 :: v_dual_max_f32 v53, 0, v5
	v_cndmask_b32_e64 v5, 0, v107, s0
	v_cmp_gt_i32_e64 s0, s4, v4
	v_cndmask_b32_e64 v1, 0, v105, s2
	v_add_f32_e32 v2, v61, v2
	v_cvt_f32_f16_e32 v6, v7
	v_lshrrev_b32_e32 v7, 16, v7
	s_and_b32 s2, s0, vcc_lo
	v_add_nc_u32_e32 v10, 0x42, v83
	s_waitcnt vmcnt(5)
	v_cndmask_b32_e64 v9, 0, v108, s2
	v_max_f32_e32 v3, 0, v2
	s_and_b32 s0, s0, s1
	v_add_f32_e32 v6, v75, v6
	v_cvt_f32_f16_e32 v7, v7
	v_max_f32_e32 v2, 0, v8
	v_lshrrev_b32_e32 v8, 16, v9
	v_cvt_f32_f16_e32 v11, v9
	s_waitcnt vmcnt(4)
	v_cndmask_b32_e64 v13, 0, v110, s0
	v_cndmask_b32_e64 v9, 0, v111, s0
	v_cmp_gt_i32_e64 s0, s4, v10
	v_dual_max_f32 v6, 0, v6 :: v_dual_add_f32 v7, v74, v7
	v_add_f32_e32 v11, v56, v11
	v_cvt_f32_f16_e32 v8, v8
	v_lshrrev_b32_e32 v56, 16, v13
	v_cvt_f32_f16_e32 v13, v13
	v_cndmask_b32_e64 v61, 0, v109, s2
	s_and_b32 s2, s0, vcc_lo
	v_dual_max_f32 v7, 0, v7 :: v_dual_add_f32 v8, v54, v8
	s_waitcnt vmcnt(3)
	v_cndmask_b32_e64 v74, 0, v112, s2
	v_add_f32_e32 v13, v69, v13
	v_cvt_f32_f16_e32 v54, v56
	s_and_b32 s0, s0, s1
	v_max_f32_e32 v69, 0, v8
	v_cndmask_b32_e64 v62, 0, v113, s2
	s_lshl_b32 s2, s17, 6
	v_add_f32_e32 v8, v67, v54
	v_max_f32_e32 v56, 0, v11
	v_lshrrev_b32_e32 v11, 16, v74
	v_max_f32_e32 v75, 0, v13
	v_cvt_f32_f16_e32 v13, v74
	v_max_f32_e32 v8, 0, v8
	v_add_nc_u32_e32 v74, 0x43, v83
	v_cvt_f32_f16_e32 v11, v11
	s_waitcnt vmcnt(2)
	v_cndmask_b32_e64 v54, 0, v115, s0
	v_cndmask_b32_e64 v67, 0, v114, s0
	v_add_f32_e32 v13, v50, v13
	v_cmp_gt_i32_e64 s0, s4, v74
	s_add_i32 s4, s17, s16
	v_cvt_f16_f32_e32 v8, v8
	v_cvt_f32_f16_e32 v50, v67
	v_cvt_f16_f32_e32 v6, v6
	s_and_b32 vcc_lo, s0, vcc_lo
	v_add_f32_e32 v11, v51, v11
	v_max_f32_e32 v51, 0, v13
	s_waitcnt vmcnt(1)
	v_dual_add_f32 v13, v63, v50 :: v_dual_cndmask_b32 v50, 0, v117
	v_cndmask_b32_e32 v63, 0, v116, vcc_lo
	v_max_f32_e32 v91, 0, v11
	v_lshrrev_b32_e32 v11, 16, v67
	s_and_b32 vcc_lo, s0, s1
	v_cmp_gt_i32_e64 s1, s11, v83
	s_waitcnt vmcnt(0)
	v_cndmask_b32_e32 v92, 0, v118, vcc_lo
	v_cvt_f32_f16_e32 v93, v63
	v_cvt_f32_f16_e32 v11, v11
	v_cvt_f16_f32_e32 v7, v7
	v_cvt_f16_f32_e32 v3, v3
	;; [unrolled: 1-line block ×3, first 2 shown]
	v_add_f32_e32 v49, v49, v93
	v_add_f32_e32 v11, v60, v11
	v_lshrrev_b32_e32 v60, 16, v63
	v_max_f32_e32 v63, 0, v13
	v_lshrrev_b32_e32 v13, 16, v92
	s_delay_alu instid0(VALU_DEP_4) | instskip(NEXT) | instid1(VALU_DEP_4)
	v_max_f32_e32 v93, 0, v11
	v_cvt_f32_f16_e32 v11, v60
	v_cvt_f32_f16_e32 v60, v92
	s_delay_alu instid0(VALU_DEP_4)
	v_cvt_f32_f16_e32 v13, v13
	v_lshrrev_b32_e32 v92, 16, v12
	v_cvt_f32_f16_e32 v12, v12
	v_add_f32_e32 v48, v48, v11
	v_mul_lo_u32 v11, v83, s16
	v_add_f32_e32 v13, v57, v13
	v_cvt_f32_f16_e32 v57, v92
	v_add_f32_e32 v46, v46, v12
	v_add_f32_e32 v55, v55, v60
	s_delay_alu instid0(VALU_DEP_4) | instskip(NEXT) | instid1(VALU_DEP_4)
	v_dual_cndmask_b32 v67, 0, v119 :: v_dual_max_f32 v60, 0, v13
	v_add_f32_e32 v47, v47, v57
	v_mad_u64_u32 v[12:13], null, v82, s17, v[11:12]
	v_cvt_f16_f32_e32 v11, v14
	s_delay_alu instid0(VALU_DEP_3) | instskip(SKIP_3) | instid1(VALU_DEP_4)
	v_dual_max_f32 v14, 0, v46 :: v_dual_max_f32 v13, 0, v47
	v_cvt_f16_f32_e32 v46, v72
	v_cmp_gt_i32_e32 vcc_lo, s18, v82
	v_cvt_f32_f16_e32 v57, v71
	v_cvt_f16_f32_e32 v14, v14
	v_cvt_f16_f32_e32 v47, v13
	v_pack_b32_f16 v13, v11, v46
	v_lshrrev_b32_e32 v11, 16, v80
	s_and_b32 s0, s1, vcc_lo
	v_add_f32_e32 v40, v40, v57
	v_cndmask_b32_e64 v46, 0x80000000, 0, s0
	v_pack_b32_f16 v14, v14, v47
	v_cvt_f32_f16_e32 v11, v11
	v_cvt_f32_f16_e32 v47, v80
	v_cmp_gt_i32_e64 s0, s18, v15
	v_lshl_add_u32 v46, v12, 1, v46
	v_cvt_f16_f32_e32 v15, v84
	v_add_f32_e32 v11, v45, v11
	v_add_f32_e32 v44, v44, v47
	v_cvt_f32_f16_e32 v47, v78
	buffer_store_b64 v[13:14], v46, s[12:15], 0 offen
	v_cvt_f16_f32_e32 v13, v79
	v_dual_max_f32 v11, 0, v11 :: v_dual_max_f32 v14, 0, v44
	v_lshrrev_b32_e32 v44, 16, v78
	s_and_b32 s1, s1, s0
	s_delay_alu instid0(VALU_DEP_3) | instskip(NEXT) | instid1(VALU_DEP_3)
	v_pack_b32_f16 v13, v13, v15
	v_cvt_f16_f32_e32 v11, v11
	v_cvt_f16_f32_e32 v14, v14
	v_cvt_f32_f16_e32 v44, v44
	v_add_nc_u32_e32 v45, s2, v12
	v_cndmask_b32_e64 v46, 0x80000000, 0, s1
	v_cmp_gt_i32_e64 s1, s11, v81
	v_pack_b32_f16 v14, v14, v11
	v_add_f32_e32 v15, v43, v44
	v_add_f32_e32 v11, v42, v47
	v_lshrrev_b32_e32 v42, 16, v71
	v_lshl_add_u32 v44, v45, 1, v46
	v_cvt_f16_f32_e32 v43, v86
	v_max_f32_e32 v15, 0, v15
	v_max_f32_e32 v11, 0, v11
	v_cvt_f32_f16_e32 v47, v42
	v_cvt_f16_f32_e32 v46, v87
	v_max_f32_e32 v40, 0, v40
	v_cvt_f16_f32_e32 v15, v15
	v_cvt_f16_f32_e32 v11, v11
	v_add_f32_e32 v41, v41, v47
	v_pack_b32_f16 v42, v43, v46
	s_and_b32 s3, s1, s0
	s_and_b32 s1, s1, vcc_lo
	v_pack_b32_f16 v43, v11, v15
	v_max_f32_e32 v15, 0, v41
	v_add_nc_u32_e32 v45, s16, v45
	v_cndmask_b32_e64 v11, 0x80000000, 0, s3
	v_add_nc_u32_e32 v41, s16, v12
	v_cvt_f16_f32_e32 v12, v66
	v_cvt_f16_f32_e32 v46, v77
	;; [unrolled: 1-line block ×4, first 2 shown]
	v_lshrrev_b32_e32 v47, 16, v65
	v_cndmask_b32_e64 v57, 0x80000000, 0, s1
	v_lshl_add_u32 v66, v45, 1, v11
	v_pack_b32_f16 v11, v12, v46
	v_pack_b32_f16 v12, v40, v15
	v_cvt_f32_f16_e32 v15, v47
	v_lshl_add_u32 v40, v41, 1, v57
	buffer_store_b64 v[13:14], v44, s[12:15], 0 offen
	v_cvt_f32_f16_e32 v13, v65
	v_dual_max_f32 v49, 0, v49 :: v_dual_add_f32 v14, v38, v15
	s_clause 0x1
	buffer_store_b64 v[42:43], v66, s[12:15], 0 offen
	buffer_store_b64 v[11:12], v40, s[12:15], 0 offen
	v_add_f32_e32 v11, v36, v13
	v_cvt_f16_f32_e32 v12, v59
	v_max_f32_e32 v13, 0, v14
	v_lshrrev_b32_e32 v14, 16, v76
	v_cvt_f16_f32_e32 v36, v73
	v_max_f32_e32 v11, 0, v11
	v_cvt_f32_f16_e32 v38, v76
	v_cvt_f16_f32_e32 v13, v13
	v_cvt_f32_f16_e32 v14, v14
	v_cmp_gt_i32_e64 s1, s11, v85
	v_cvt_f16_f32_e32 v40, v11
	v_pack_b32_f16 v11, v12, v36
	v_lshrrev_b32_e32 v36, 16, v70
	v_add_f32_e32 v14, v39, v14
	v_add_f32_e32 v37, v37, v38
	v_pack_b32_f16 v12, v40, v13
	v_cvt_f32_f16_e32 v40, v70
	v_cvt_f32_f16_e32 v36, v36
	s_and_b32 s3, s1, vcc_lo
	v_add_nc_u32_e32 v15, s16, v41
	v_cndmask_b32_e64 v41, 0x80000000, 0, s3
	v_dual_max_f32 v13, 0, v14 :: v_dual_max_f32 v14, 0, v37
	v_dual_max_f32 v55, 0, v55 :: v_dual_add_f32 v34, v34, v40
	v_add_f32_e32 v35, v35, v36
	s_and_b32 s1, s1, s0
	v_lshl_add_u32 v15, v15, 1, v41
	v_cndmask_b32_e64 v36, 0x80000000, 0, s1
	v_cmp_gt_i32_e64 s1, s11, v88
	v_cvt_f16_f32_e32 v37, v89
	v_cvt_f16_f32_e32 v38, v90
	v_cvt_f16_f32_e32 v39, v13
	v_cvt_f16_f32_e32 v14, v14
	v_add_nc_u32_e32 v41, s16, v45
	v_dual_max_f32 v35, 0, v35 :: v_dual_max_f32 v34, 0, v34
	s_and_b32 s3, s1, s0
	v_pack_b32_f16 v13, v37, v38
	v_pack_b32_f16 v14, v14, v39
	v_add_nc_u32_e32 v37, s16, v41
	v_cvt_f16_f32_e32 v38, v68
	v_cvt_f16_f32_e32 v39, v64
	;; [unrolled: 1-line block ×4, first 2 shown]
	v_cndmask_b32_e64 v42, 0x80000000, 0, s3
	v_lshrrev_b32_e32 v43, 16, v58
	v_lshl_add_u32 v36, v41, 1, v36
	v_pack_b32_f16 v34, v38, v39
	v_pack_b32_f16 v35, v40, v35
	v_lshl_add_u32 v38, v37, 1, v42
	v_cvt_f32_f16_e32 v39, v43
	v_cvt_f32_f16_e32 v40, v58
	s_clause 0x2
	buffer_store_b64 v[11:12], v15, s[12:15], 0 offen
	buffer_store_b64 v[13:14], v36, s[12:15], 0 offen
	;; [unrolled: 1-line block ×3, first 2 shown]
	v_lshrrev_b32_e32 v14, 16, v50
	v_subrev_nc_u32_e32 v13, s2, v37
	v_dual_add_f32 v11, v30, v39 :: v_dual_add_f32 v12, v28, v40
	v_cvt_f32_f16_e32 v30, v50
	s_delay_alu instid0(VALU_DEP_4) | instskip(SKIP_1) | instid1(VALU_DEP_4)
	v_cvt_f32_f16_e32 v14, v14
	v_cvt_f16_f32_e32 v15, v52
	v_dual_max_f32 v11, 0, v11 :: v_dual_max_f32 v12, 0, v12
	v_cvt_f16_f32_e32 v28, v53
	s_delay_alu instid0(VALU_DEP_4)
	v_add_f32_e32 v14, v32, v14
	v_add_f32_e32 v30, v31, v30
	s_and_b32 s1, s1, vcc_lo
	v_cvt_f16_f32_e32 v34, v11
	v_cvt_f16_f32_e32 v12, v12
	v_lshlrev_b32_e32 v35, 1, v13
	v_cndmask_b32_e64 v31, 0x80000000, 0, s1
	v_pack_b32_f16 v11, v15, v28
	v_max_f32_e32 v14, 0, v14
	v_max_f32_e32 v15, 0, v30
	v_pack_b32_f16 v12, v12, v34
	v_add_nc_u32_e32 v28, v35, v31
	v_lshrrev_b32_e32 v32, 16, v67
	v_cvt_f16_f32_e32 v14, v14
	v_cvt_f16_f32_e32 v15, v15
	v_cmp_gt_i32_e64 s1, s11, v74
	buffer_store_b64 v[11:12], v28, s[12:15], 0 offen
	v_max_f32_e32 v48, 0, v48
	v_cvt_f16_f32_e32 v30, v49
	v_pack_b32_f16 v12, v15, v14
	v_cvt_f32_f16_e32 v14, v32
	v_cvt_f32_f16_e32 v15, v67
	s_and_b32 s3, s1, vcc_lo
	v_cvt_f16_f32_e32 v31, v48
	v_cndmask_b32_e64 v28, 0x80000000, 0, s3
	s_delay_alu instid0(VALU_DEP_3) | instskip(SKIP_2) | instid1(VALU_DEP_3)
	v_dual_add_f32 v14, v24, v14 :: v_dual_add_f32 v15, v33, v15
	s_lshl_b32 s3, s16, 7
	v_cvt_f32_f16_e32 v33, v54
	v_add3_u32 v24, v28, s3, v35
	v_lshl_add_u32 v28, s4, 6, v13
	v_dual_max_f32 v13, 0, v14 :: v_dual_max_f32 v14, 0, v15
	v_lshrrev_b32_e32 v15, 16, v54
	v_add_f32_e32 v27, v27, v33
	s_and_b32 s1, s1, s0
	v_pack_b32_f16 v11, v30, v31
	v_cvt_f16_f32_e32 v30, v55
	v_cvt_f32_f16_e32 v15, v15
	v_cvt_f16_f32_e32 v31, v60
	v_cvt_f16_f32_e32 v32, v13
	;; [unrolled: 1-line block ×3, first 2 shown]
	v_cndmask_b32_e64 v34, 0x80000000, 0, s1
	v_add_f32_e32 v15, v29, v15
	v_max_f32_e32 v27, 0, v27
	v_pack_b32_f16 v13, v30, v31
	v_pack_b32_f16 v14, v14, v32
	v_lshl_add_u32 v29, v28, 1, v34
	v_max_f32_e32 v15, 0, v15
	v_subrev_nc_u32_e32 v30, s16, v28
	v_cvt_f16_f32_e32 v28, v63
	v_cvt_f16_f32_e32 v31, v93
	;; [unrolled: 1-line block ×4, first 2 shown]
	v_lshrrev_b32_e32 v33, 16, v62
	s_clause 0x1
	buffer_store_b64 v[11:12], v24, s[12:15], 0 offen
	buffer_store_b64 v[13:14], v29, s[12:15], 0 offen
	v_pack_b32_f16 v27, v28, v31
	v_cvt_f32_f16_e32 v31, v62
	v_pack_b32_f16 v28, v32, v15
	v_cvt_f32_f16_e32 v15, v33
	v_lshrrev_b32_e32 v24, 16, v61
	v_cmp_ge_i32_e64 s1, s11, v74
	v_add_f32_e32 v12, v25, v31
	v_cvt_f16_f32_e32 v14, v51
	v_add_f32_e32 v11, v26, v15
	v_cvt_f16_f32_e32 v15, v91
	v_cvt_f32_f16_e32 v26, v61
	v_max_f32_e32 v12, 0, v12
	v_cvt_f32_f16_e32 v24, v24
	v_max_f32_e32 v11, 0, v11
	s_and_b32 s1, s1, s0
	v_subrev_nc_u32_e32 v13, s2, v30
	v_cndmask_b32_e64 v34, 0x80000000, 0, s1
	v_cvt_f16_f32_e32 v12, v12
	v_cvt_f16_f32_e32 v25, v11
	v_pack_b32_f16 v11, v14, v15
	v_dual_add_f32 v14, v22, v24 :: v_dual_add_f32 v15, v20, v26
	v_cmp_gt_i32_e64 s1, s11, v10
	v_lshl_add_u32 v32, v30, 1, v34
	v_pack_b32_f16 v12, v12, v25
	s_delay_alu instid0(VALU_DEP_4)
	v_dual_max_f32 v14, 0, v14 :: v_dual_max_f32 v15, 0, v15
	v_lshrrev_b32_e32 v25, 16, v9
	s_and_b32 s1, s1, vcc_lo
	buffer_store_b64 v[27:28], v32, s[12:15], 0 offen
	v_cndmask_b32_e64 v27, 0x80000000, 0, s1
	v_cmp_ge_i32_e64 s1, s11, v10
	v_cvt_f16_f32_e32 v10, v14
	v_cvt_f16_f32_e32 v14, v15
	v_cvt_f32_f16_e32 v15, v9
	v_cvt_f32_f16_e32 v25, v25
	s_and_b32 s1, s1, vcc_lo
	v_lshl_add_u32 v20, v13, 1, v27
	v_pack_b32_f16 v10, v14, v10
	s_delay_alu instid0(VALU_DEP_3)
	v_dual_add_f32 v15, v21, v15 :: v_dual_add_f32 v14, v23, v25
	v_cndmask_b32_e64 v26, 0x80000000, 0, s1
	v_cmp_gt_i32_e64 s1, s11, v4
	v_subrev_nc_u32_e32 v13, s16, v13
	v_cvt_f16_f32_e32 v22, v56
	v_cvt_f16_f32_e32 v24, v69
	v_dual_max_f32 v14, 0, v14 :: v_dual_max_f32 v15, 0, v15
	v_lshrrev_b32_e32 v23, 16, v5
	v_cvt_f32_f16_e32 v5, v5
	s_and_b32 s1, s1, s0
	v_pack_b32_f16 v9, v22, v24
	v_lshl_add_u32 v21, v13, 1, v26
	v_add_nc_u32_e32 v22, s2, v13
	v_cvt_f16_f32_e32 v13, v75
	v_cvt_f16_f32_e32 v14, v14
	;; [unrolled: 1-line block ×3, first 2 shown]
	v_cvt_f32_f16_e32 v23, v23
	v_cndmask_b32_e64 v24, 0x80000000, 0, s1
	v_add_f32_e32 v5, v18, v5
	v_lshrrev_b32_e32 v18, 16, v1
	v_pack_b32_f16 v13, v13, v8
	v_pack_b32_f16 v14, v15, v14
	v_add_f32_e32 v8, v19, v23
	v_lshl_add_u32 v15, v22, 1, v24
	v_subrev_nc_u32_e32 v19, s16, v22
	v_max_f32_e32 v22, 0, v5
	v_pack_b32_f16 v5, v6, v7
	v_cvt_f32_f16_e32 v7, v18
	v_cvt_f32_f16_e32 v1, v1
	v_cmp_ge_i32_e64 s1, s11, v4
	v_cmp_gt_i32_e64 s2, s11, v0
	s_delay_alu instid0(VALU_DEP_4) | instskip(NEXT) | instid1(VALU_DEP_4)
	v_dual_max_f32 v8, 0, v8 :: v_dual_add_f32 v7, v17, v7
	v_add_f32_e32 v1, v16, v1
	s_delay_alu instid0(VALU_DEP_4)
	s_and_b32 s0, s1, s0
	v_lshlrev_b32_e32 v4, 1, v19
	v_cndmask_b32_e64 v0, 0x80000000, 0, s0
	s_and_b32 s0, s2, vcc_lo
	v_max_f32_e32 v7, 0, v7
	v_max_f32_e32 v1, 0, v1
	v_cndmask_b32_e64 v16, 0x80000000, 0, s0
	s_lshl_b32 s0, s17, 7
	v_cvt_f16_f32_e32 v6, v8
	v_cvt_f16_f32_e32 v8, v22
	;; [unrolled: 1-line block ×4, first 2 shown]
	v_subrev_nc_u32_e32 v16, s0, v16
	s_delay_alu instid0(VALU_DEP_4) | instskip(SKIP_2) | instid1(VALU_DEP_4)
	v_pack_b32_f16 v6, v8, v6
	v_add_nc_u32_e32 v8, v4, v0
	v_pack_b32_f16 v0, v3, v2
	v_add_nc_u32_e32 v2, v16, v4
	v_pack_b32_f16 v1, v1, v7
	s_clause 0x4
	buffer_store_b64 v[11:12], v20, s[12:15], 0 offen
	buffer_store_b64 v[9:10], v21, s[12:15], 0 offen
	;; [unrolled: 1-line block ×5, first 2 shown]
	s_nop 0
	s_sendmsg sendmsg(MSG_DEALLOC_VGPRS)
	s_endpgm
	.section	.rodata,"a",@progbits
	.p2align	6, 0x0
	.amdhsa_kernel _ZN2ck16tensor_operation6device12_GLOBAL__N_137kernel_grouped_conv_fwd_dl_multiple_dINS_32GridwiseGemmDlMultipleD_km_kn_mnILi256EDF16_fNS_5TupleIJDF16_EEEDF16_NS0_12element_wise11PassThroughES8_NS7_7AddReluELNS_25InMemoryDataOperationEnumE0ENS_16TensorDescriptorINS5_IJNS_5EmbedINS5_IJiiiEEESD_Lb0EEENS_11PassThroughIiEENS_3PadIiiiLb0EEESG_SG_NSC_INS5_IJiiEEESJ_Lb0EEESG_NS_23Merge_v2_magic_divisionISJ_EESM_NS_8RightPadIiiLb0EEESO_NS_7UnMergeISJ_Lb0EEESG_EEENS5_IJNS_8SequenceIJLi0EEEENSS_IJLi1EEEENSS_IJLi2EEEENSS_IJLi3EEEENSS_IJLi4EEEENSS_IJLi5EEEENSS_IJLi6EEEENSS_IJLi7ELi9EEEENSS_IJLi8ELi10EEEENSS_IJLi11EEEENSS_IJLi12EEEENSS_IJLi14EEEENSS_IJLi13EEEEEEENS5_IJNSS_IJLi1ELi2ELi3EEEESX_SY_SZ_NSS_IJLi7EEEENSS_IJLi8ELi9EEEENSS_IJLi10EEEES12_S13_S15_S14_NSS_IJLi15ELi16EEEENSS_IJLi17EEEEEEENSS_IJLi15ELi17ELi16EEEElEENSB_INS5_IJSQ_SO_SO_SQ_SG_EEENS5_IJST_SU_SV_SX_SW_EEENS5_IJNSS_IJLi1ELi2EEEESW_SX_NSS_IJLi5ELi6EEEES18_EEENSS_IJLi5ELi7ELi6EEEElEENSB_INS5_IJSK_SO_SO_EEENS5_IJST_SU_SV_EEENS5_IJS1I_SW_SX_EEENSS_IJLi3ELi4EEEElEELi128ELi128ELi16ELi2ELi4ELi4ELi1ENSS_IJLi8ELi2EEEES1S_NSS_IJLi8ELi1ELi1ELi2EEEENSS_IJLi2ELi1ELi128ELi1EEEENSS_IJLi1ELi2ELi0ELi3EEEES1V_NSS_IJLi4ELi1ELi1ELi2EEEES1V_NSS_IJLi1ELi1ELi1ELi2EEEES1T_S1U_S1V_S1V_S1W_S1V_S1X_NSS_IJLi0ELi1ELi2ELi3ELi4ELi5EEEELi5ELi4EEEDF16_NS5_IJPKDF16_EEEDF16_S8_S8_S9_NSB_INS5_IJSE_SG_SI_SG_SG_SK_SG_SM_SM_SO_SO_SQ_SG_SG_NSP_INS5_IJiNS_17integral_constantIiLi128EEEEEELb0EEENSF_INS23_IiLi2EEEEEEEENS5_IJST_SU_SV_SW_SX_SY_SZ_S10_S11_S12_S13_S14_S15_NSS_IJLi15EEEES1C_NSS_IJLi16EEEEEEENS5_IJS17_SX_SY_SZ_S18_S19_S1A_S12_S13_S15_S14_S1B_S1C_NSS_IJLi18EEEENSS_IJLi19ELi20EEEENSS_IJLi21EEEEEEENSS_IJLi18ELi19ELi20ELi21EEEElEENSB_INS5_IJSQ_SO_SO_SQ_SG_SG_S26_S28_EEENS5_IJST_SU_SV_SX_SW_SY_S18_SZ_EEENS5_IJS1I_SW_SX_S1J_S18_NSS_IJLi8EEEENSS_IJLi9ELi10EEEES12_EEENSS_IJLi8ELi9ELi10ELi11EEEElEENS5_IJNSB_INS5_IJSK_SO_SO_NSP_INS5_IJiS27_NS23_IiLi64EEEEEELb0EEES2S_EEENS5_IJST_SU_SV_SW_SX_EEENS5_IJS1I_SW_SX_NSS_IJLi5ELi6ELi7EEEENSS_IJLi8ELi9ELi10EEEEEEENSS_IJLi5ELi6ELi7ELi8ELi9ELi10EEEElEEEEES2Z_NS_31BlockToCTileMap_M00_N00_M01_N01ILi128ELi128ES1R_Lb0EEENS1_30ComputePtrOffsetOfStridedBatchILi1ELi1ELi1EvEELb0ELb0EEEvPKT0_S37_T1_PT2_T3_T4_T5_iT6_T7_T8_T9_T10_T11_
		.amdhsa_group_segment_fixed_size 32768
		.amdhsa_private_segment_fixed_size 0
		.amdhsa_kernarg_size 904
		.amdhsa_user_sgpr_count 15
		.amdhsa_user_sgpr_dispatch_ptr 0
		.amdhsa_user_sgpr_queue_ptr 0
		.amdhsa_user_sgpr_kernarg_segment_ptr 1
		.amdhsa_user_sgpr_dispatch_id 0
		.amdhsa_user_sgpr_private_segment_size 0
		.amdhsa_wavefront_size32 1
		.amdhsa_uses_dynamic_stack 0
		.amdhsa_enable_private_segment 0
		.amdhsa_system_sgpr_workgroup_id_x 1
		.amdhsa_system_sgpr_workgroup_id_y 0
		.amdhsa_system_sgpr_workgroup_id_z 0
		.amdhsa_system_sgpr_workgroup_info 0
		.amdhsa_system_vgpr_workitem_id 0
		.amdhsa_next_free_vgpr 148
		.amdhsa_next_free_sgpr 44
		.amdhsa_reserve_vcc 1
		.amdhsa_float_round_mode_32 0
		.amdhsa_float_round_mode_16_64 0
		.amdhsa_float_denorm_mode_32 3
		.amdhsa_float_denorm_mode_16_64 3
		.amdhsa_dx10_clamp 1
		.amdhsa_ieee_mode 1
		.amdhsa_fp16_overflow 0
		.amdhsa_workgroup_processor_mode 1
		.amdhsa_memory_ordered 1
		.amdhsa_forward_progress 0
		.amdhsa_shared_vgpr_count 0
		.amdhsa_exception_fp_ieee_invalid_op 0
		.amdhsa_exception_fp_denorm_src 0
		.amdhsa_exception_fp_ieee_div_zero 0
		.amdhsa_exception_fp_ieee_overflow 0
		.amdhsa_exception_fp_ieee_underflow 0
		.amdhsa_exception_fp_ieee_inexact 0
		.amdhsa_exception_int_div_zero 0
	.end_amdhsa_kernel
	.section	.text._ZN2ck16tensor_operation6device12_GLOBAL__N_137kernel_grouped_conv_fwd_dl_multiple_dINS_32GridwiseGemmDlMultipleD_km_kn_mnILi256EDF16_fNS_5TupleIJDF16_EEEDF16_NS0_12element_wise11PassThroughES8_NS7_7AddReluELNS_25InMemoryDataOperationEnumE0ENS_16TensorDescriptorINS5_IJNS_5EmbedINS5_IJiiiEEESD_Lb0EEENS_11PassThroughIiEENS_3PadIiiiLb0EEESG_SG_NSC_INS5_IJiiEEESJ_Lb0EEESG_NS_23Merge_v2_magic_divisionISJ_EESM_NS_8RightPadIiiLb0EEESO_NS_7UnMergeISJ_Lb0EEESG_EEENS5_IJNS_8SequenceIJLi0EEEENSS_IJLi1EEEENSS_IJLi2EEEENSS_IJLi3EEEENSS_IJLi4EEEENSS_IJLi5EEEENSS_IJLi6EEEENSS_IJLi7ELi9EEEENSS_IJLi8ELi10EEEENSS_IJLi11EEEENSS_IJLi12EEEENSS_IJLi14EEEENSS_IJLi13EEEEEEENS5_IJNSS_IJLi1ELi2ELi3EEEESX_SY_SZ_NSS_IJLi7EEEENSS_IJLi8ELi9EEEENSS_IJLi10EEEES12_S13_S15_S14_NSS_IJLi15ELi16EEEENSS_IJLi17EEEEEEENSS_IJLi15ELi17ELi16EEEElEENSB_INS5_IJSQ_SO_SO_SQ_SG_EEENS5_IJST_SU_SV_SX_SW_EEENS5_IJNSS_IJLi1ELi2EEEESW_SX_NSS_IJLi5ELi6EEEES18_EEENSS_IJLi5ELi7ELi6EEEElEENSB_INS5_IJSK_SO_SO_EEENS5_IJST_SU_SV_EEENS5_IJS1I_SW_SX_EEENSS_IJLi3ELi4EEEElEELi128ELi128ELi16ELi2ELi4ELi4ELi1ENSS_IJLi8ELi2EEEES1S_NSS_IJLi8ELi1ELi1ELi2EEEENSS_IJLi2ELi1ELi128ELi1EEEENSS_IJLi1ELi2ELi0ELi3EEEES1V_NSS_IJLi4ELi1ELi1ELi2EEEES1V_NSS_IJLi1ELi1ELi1ELi2EEEES1T_S1U_S1V_S1V_S1W_S1V_S1X_NSS_IJLi0ELi1ELi2ELi3ELi4ELi5EEEELi5ELi4EEEDF16_NS5_IJPKDF16_EEEDF16_S8_S8_S9_NSB_INS5_IJSE_SG_SI_SG_SG_SK_SG_SM_SM_SO_SO_SQ_SG_SG_NSP_INS5_IJiNS_17integral_constantIiLi128EEEEEELb0EEENSF_INS23_IiLi2EEEEEEEENS5_IJST_SU_SV_SW_SX_SY_SZ_S10_S11_S12_S13_S14_S15_NSS_IJLi15EEEES1C_NSS_IJLi16EEEEEEENS5_IJS17_SX_SY_SZ_S18_S19_S1A_S12_S13_S15_S14_S1B_S1C_NSS_IJLi18EEEENSS_IJLi19ELi20EEEENSS_IJLi21EEEEEEENSS_IJLi18ELi19ELi20ELi21EEEElEENSB_INS5_IJSQ_SO_SO_SQ_SG_SG_S26_S28_EEENS5_IJST_SU_SV_SX_SW_SY_S18_SZ_EEENS5_IJS1I_SW_SX_S1J_S18_NSS_IJLi8EEEENSS_IJLi9ELi10EEEES12_EEENSS_IJLi8ELi9ELi10ELi11EEEElEENS5_IJNSB_INS5_IJSK_SO_SO_NSP_INS5_IJiS27_NS23_IiLi64EEEEEELb0EEES2S_EEENS5_IJST_SU_SV_SW_SX_EEENS5_IJS1I_SW_SX_NSS_IJLi5ELi6ELi7EEEENSS_IJLi8ELi9ELi10EEEEEEENSS_IJLi5ELi6ELi7ELi8ELi9ELi10EEEElEEEEES2Z_NS_31BlockToCTileMap_M00_N00_M01_N01ILi128ELi128ES1R_Lb0EEENS1_30ComputePtrOffsetOfStridedBatchILi1ELi1ELi1EvEELb0ELb0EEEvPKT0_S37_T1_PT2_T3_T4_T5_iT6_T7_T8_T9_T10_T11_,"axG",@progbits,_ZN2ck16tensor_operation6device12_GLOBAL__N_137kernel_grouped_conv_fwd_dl_multiple_dINS_32GridwiseGemmDlMultipleD_km_kn_mnILi256EDF16_fNS_5TupleIJDF16_EEEDF16_NS0_12element_wise11PassThroughES8_NS7_7AddReluELNS_25InMemoryDataOperationEnumE0ENS_16TensorDescriptorINS5_IJNS_5EmbedINS5_IJiiiEEESD_Lb0EEENS_11PassThroughIiEENS_3PadIiiiLb0EEESG_SG_NSC_INS5_IJiiEEESJ_Lb0EEESG_NS_23Merge_v2_magic_divisionISJ_EESM_NS_8RightPadIiiLb0EEESO_NS_7UnMergeISJ_Lb0EEESG_EEENS5_IJNS_8SequenceIJLi0EEEENSS_IJLi1EEEENSS_IJLi2EEEENSS_IJLi3EEEENSS_IJLi4EEEENSS_IJLi5EEEENSS_IJLi6EEEENSS_IJLi7ELi9EEEENSS_IJLi8ELi10EEEENSS_IJLi11EEEENSS_IJLi12EEEENSS_IJLi14EEEENSS_IJLi13EEEEEEENS5_IJNSS_IJLi1ELi2ELi3EEEESX_SY_SZ_NSS_IJLi7EEEENSS_IJLi8ELi9EEEENSS_IJLi10EEEES12_S13_S15_S14_NSS_IJLi15ELi16EEEENSS_IJLi17EEEEEEENSS_IJLi15ELi17ELi16EEEElEENSB_INS5_IJSQ_SO_SO_SQ_SG_EEENS5_IJST_SU_SV_SX_SW_EEENS5_IJNSS_IJLi1ELi2EEEESW_SX_NSS_IJLi5ELi6EEEES18_EEENSS_IJLi5ELi7ELi6EEEElEENSB_INS5_IJSK_SO_SO_EEENS5_IJST_SU_SV_EEENS5_IJS1I_SW_SX_EEENSS_IJLi3ELi4EEEElEELi128ELi128ELi16ELi2ELi4ELi4ELi1ENSS_IJLi8ELi2EEEES1S_NSS_IJLi8ELi1ELi1ELi2EEEENSS_IJLi2ELi1ELi128ELi1EEEENSS_IJLi1ELi2ELi0ELi3EEEES1V_NSS_IJLi4ELi1ELi1ELi2EEEES1V_NSS_IJLi1ELi1ELi1ELi2EEEES1T_S1U_S1V_S1V_S1W_S1V_S1X_NSS_IJLi0ELi1ELi2ELi3ELi4ELi5EEEELi5ELi4EEEDF16_NS5_IJPKDF16_EEEDF16_S8_S8_S9_NSB_INS5_IJSE_SG_SI_SG_SG_SK_SG_SM_SM_SO_SO_SQ_SG_SG_NSP_INS5_IJiNS_17integral_constantIiLi128EEEEEELb0EEENSF_INS23_IiLi2EEEEEEEENS5_IJST_SU_SV_SW_SX_SY_SZ_S10_S11_S12_S13_S14_S15_NSS_IJLi15EEEES1C_NSS_IJLi16EEEEEEENS5_IJS17_SX_SY_SZ_S18_S19_S1A_S12_S13_S15_S14_S1B_S1C_NSS_IJLi18EEEENSS_IJLi19ELi20EEEENSS_IJLi21EEEEEEENSS_IJLi18ELi19ELi20ELi21EEEElEENSB_INS5_IJSQ_SO_SO_SQ_SG_SG_S26_S28_EEENS5_IJST_SU_SV_SX_SW_SY_S18_SZ_EEENS5_IJS1I_SW_SX_S1J_S18_NSS_IJLi8EEEENSS_IJLi9ELi10EEEES12_EEENSS_IJLi8ELi9ELi10ELi11EEEElEENS5_IJNSB_INS5_IJSK_SO_SO_NSP_INS5_IJiS27_NS23_IiLi64EEEEEELb0EEES2S_EEENS5_IJST_SU_SV_SW_SX_EEENS5_IJS1I_SW_SX_NSS_IJLi5ELi6ELi7EEEENSS_IJLi8ELi9ELi10EEEEEEENSS_IJLi5ELi6ELi7ELi8ELi9ELi10EEEElEEEEES2Z_NS_31BlockToCTileMap_M00_N00_M01_N01ILi128ELi128ES1R_Lb0EEENS1_30ComputePtrOffsetOfStridedBatchILi1ELi1ELi1EvEELb0ELb0EEEvPKT0_S37_T1_PT2_T3_T4_T5_iT6_T7_T8_T9_T10_T11_,comdat
.Lfunc_end4:
	.size	_ZN2ck16tensor_operation6device12_GLOBAL__N_137kernel_grouped_conv_fwd_dl_multiple_dINS_32GridwiseGemmDlMultipleD_km_kn_mnILi256EDF16_fNS_5TupleIJDF16_EEEDF16_NS0_12element_wise11PassThroughES8_NS7_7AddReluELNS_25InMemoryDataOperationEnumE0ENS_16TensorDescriptorINS5_IJNS_5EmbedINS5_IJiiiEEESD_Lb0EEENS_11PassThroughIiEENS_3PadIiiiLb0EEESG_SG_NSC_INS5_IJiiEEESJ_Lb0EEESG_NS_23Merge_v2_magic_divisionISJ_EESM_NS_8RightPadIiiLb0EEESO_NS_7UnMergeISJ_Lb0EEESG_EEENS5_IJNS_8SequenceIJLi0EEEENSS_IJLi1EEEENSS_IJLi2EEEENSS_IJLi3EEEENSS_IJLi4EEEENSS_IJLi5EEEENSS_IJLi6EEEENSS_IJLi7ELi9EEEENSS_IJLi8ELi10EEEENSS_IJLi11EEEENSS_IJLi12EEEENSS_IJLi14EEEENSS_IJLi13EEEEEEENS5_IJNSS_IJLi1ELi2ELi3EEEESX_SY_SZ_NSS_IJLi7EEEENSS_IJLi8ELi9EEEENSS_IJLi10EEEES12_S13_S15_S14_NSS_IJLi15ELi16EEEENSS_IJLi17EEEEEEENSS_IJLi15ELi17ELi16EEEElEENSB_INS5_IJSQ_SO_SO_SQ_SG_EEENS5_IJST_SU_SV_SX_SW_EEENS5_IJNSS_IJLi1ELi2EEEESW_SX_NSS_IJLi5ELi6EEEES18_EEENSS_IJLi5ELi7ELi6EEEElEENSB_INS5_IJSK_SO_SO_EEENS5_IJST_SU_SV_EEENS5_IJS1I_SW_SX_EEENSS_IJLi3ELi4EEEElEELi128ELi128ELi16ELi2ELi4ELi4ELi1ENSS_IJLi8ELi2EEEES1S_NSS_IJLi8ELi1ELi1ELi2EEEENSS_IJLi2ELi1ELi128ELi1EEEENSS_IJLi1ELi2ELi0ELi3EEEES1V_NSS_IJLi4ELi1ELi1ELi2EEEES1V_NSS_IJLi1ELi1ELi1ELi2EEEES1T_S1U_S1V_S1V_S1W_S1V_S1X_NSS_IJLi0ELi1ELi2ELi3ELi4ELi5EEEELi5ELi4EEEDF16_NS5_IJPKDF16_EEEDF16_S8_S8_S9_NSB_INS5_IJSE_SG_SI_SG_SG_SK_SG_SM_SM_SO_SO_SQ_SG_SG_NSP_INS5_IJiNS_17integral_constantIiLi128EEEEEELb0EEENSF_INS23_IiLi2EEEEEEEENS5_IJST_SU_SV_SW_SX_SY_SZ_S10_S11_S12_S13_S14_S15_NSS_IJLi15EEEES1C_NSS_IJLi16EEEEEEENS5_IJS17_SX_SY_SZ_S18_S19_S1A_S12_S13_S15_S14_S1B_S1C_NSS_IJLi18EEEENSS_IJLi19ELi20EEEENSS_IJLi21EEEEEEENSS_IJLi18ELi19ELi20ELi21EEEElEENSB_INS5_IJSQ_SO_SO_SQ_SG_SG_S26_S28_EEENS5_IJST_SU_SV_SX_SW_SY_S18_SZ_EEENS5_IJS1I_SW_SX_S1J_S18_NSS_IJLi8EEEENSS_IJLi9ELi10EEEES12_EEENSS_IJLi8ELi9ELi10ELi11EEEElEENS5_IJNSB_INS5_IJSK_SO_SO_NSP_INS5_IJiS27_NS23_IiLi64EEEEEELb0EEES2S_EEENS5_IJST_SU_SV_SW_SX_EEENS5_IJS1I_SW_SX_NSS_IJLi5ELi6ELi7EEEENSS_IJLi8ELi9ELi10EEEEEEENSS_IJLi5ELi6ELi7ELi8ELi9ELi10EEEElEEEEES2Z_NS_31BlockToCTileMap_M00_N00_M01_N01ILi128ELi128ES1R_Lb0EEENS1_30ComputePtrOffsetOfStridedBatchILi1ELi1ELi1EvEELb0ELb0EEEvPKT0_S37_T1_PT2_T3_T4_T5_iT6_T7_T8_T9_T10_T11_, .Lfunc_end4-_ZN2ck16tensor_operation6device12_GLOBAL__N_137kernel_grouped_conv_fwd_dl_multiple_dINS_32GridwiseGemmDlMultipleD_km_kn_mnILi256EDF16_fNS_5TupleIJDF16_EEEDF16_NS0_12element_wise11PassThroughES8_NS7_7AddReluELNS_25InMemoryDataOperationEnumE0ENS_16TensorDescriptorINS5_IJNS_5EmbedINS5_IJiiiEEESD_Lb0EEENS_11PassThroughIiEENS_3PadIiiiLb0EEESG_SG_NSC_INS5_IJiiEEESJ_Lb0EEESG_NS_23Merge_v2_magic_divisionISJ_EESM_NS_8RightPadIiiLb0EEESO_NS_7UnMergeISJ_Lb0EEESG_EEENS5_IJNS_8SequenceIJLi0EEEENSS_IJLi1EEEENSS_IJLi2EEEENSS_IJLi3EEEENSS_IJLi4EEEENSS_IJLi5EEEENSS_IJLi6EEEENSS_IJLi7ELi9EEEENSS_IJLi8ELi10EEEENSS_IJLi11EEEENSS_IJLi12EEEENSS_IJLi14EEEENSS_IJLi13EEEEEEENS5_IJNSS_IJLi1ELi2ELi3EEEESX_SY_SZ_NSS_IJLi7EEEENSS_IJLi8ELi9EEEENSS_IJLi10EEEES12_S13_S15_S14_NSS_IJLi15ELi16EEEENSS_IJLi17EEEEEEENSS_IJLi15ELi17ELi16EEEElEENSB_INS5_IJSQ_SO_SO_SQ_SG_EEENS5_IJST_SU_SV_SX_SW_EEENS5_IJNSS_IJLi1ELi2EEEESW_SX_NSS_IJLi5ELi6EEEES18_EEENSS_IJLi5ELi7ELi6EEEElEENSB_INS5_IJSK_SO_SO_EEENS5_IJST_SU_SV_EEENS5_IJS1I_SW_SX_EEENSS_IJLi3ELi4EEEElEELi128ELi128ELi16ELi2ELi4ELi4ELi1ENSS_IJLi8ELi2EEEES1S_NSS_IJLi8ELi1ELi1ELi2EEEENSS_IJLi2ELi1ELi128ELi1EEEENSS_IJLi1ELi2ELi0ELi3EEEES1V_NSS_IJLi4ELi1ELi1ELi2EEEES1V_NSS_IJLi1ELi1ELi1ELi2EEEES1T_S1U_S1V_S1V_S1W_S1V_S1X_NSS_IJLi0ELi1ELi2ELi3ELi4ELi5EEEELi5ELi4EEEDF16_NS5_IJPKDF16_EEEDF16_S8_S8_S9_NSB_INS5_IJSE_SG_SI_SG_SG_SK_SG_SM_SM_SO_SO_SQ_SG_SG_NSP_INS5_IJiNS_17integral_constantIiLi128EEEEEELb0EEENSF_INS23_IiLi2EEEEEEEENS5_IJST_SU_SV_SW_SX_SY_SZ_S10_S11_S12_S13_S14_S15_NSS_IJLi15EEEES1C_NSS_IJLi16EEEEEEENS5_IJS17_SX_SY_SZ_S18_S19_S1A_S12_S13_S15_S14_S1B_S1C_NSS_IJLi18EEEENSS_IJLi19ELi20EEEENSS_IJLi21EEEEEEENSS_IJLi18ELi19ELi20ELi21EEEElEENSB_INS5_IJSQ_SO_SO_SQ_SG_SG_S26_S28_EEENS5_IJST_SU_SV_SX_SW_SY_S18_SZ_EEENS5_IJS1I_SW_SX_S1J_S18_NSS_IJLi8EEEENSS_IJLi9ELi10EEEES12_EEENSS_IJLi8ELi9ELi10ELi11EEEElEENS5_IJNSB_INS5_IJSK_SO_SO_NSP_INS5_IJiS27_NS23_IiLi64EEEEEELb0EEES2S_EEENS5_IJST_SU_SV_SW_SX_EEENS5_IJS1I_SW_SX_NSS_IJLi5ELi6ELi7EEEENSS_IJLi8ELi9ELi10EEEEEEENSS_IJLi5ELi6ELi7ELi8ELi9ELi10EEEElEEEEES2Z_NS_31BlockToCTileMap_M00_N00_M01_N01ILi128ELi128ES1R_Lb0EEENS1_30ComputePtrOffsetOfStridedBatchILi1ELi1ELi1EvEELb0ELb0EEEvPKT0_S37_T1_PT2_T3_T4_T5_iT6_T7_T8_T9_T10_T11_
                                        ; -- End function
	.section	.AMDGPU.csdata,"",@progbits
; Kernel info:
; codeLenInByte = 9532
; NumSgprs: 46
; NumVgprs: 148
; ScratchSize: 0
; MemoryBound: 0
; FloatMode: 240
; IeeeMode: 1
; LDSByteSize: 32768 bytes/workgroup (compile time only)
; SGPRBlocks: 5
; VGPRBlocks: 18
; NumSGPRsForWavesPerEU: 46
; NumVGPRsForWavesPerEU: 148
; Occupancy: 8
; WaveLimiterHint : 0
; COMPUTE_PGM_RSRC2:SCRATCH_EN: 0
; COMPUTE_PGM_RSRC2:USER_SGPR: 15
; COMPUTE_PGM_RSRC2:TRAP_HANDLER: 0
; COMPUTE_PGM_RSRC2:TGID_X_EN: 1
; COMPUTE_PGM_RSRC2:TGID_Y_EN: 0
; COMPUTE_PGM_RSRC2:TGID_Z_EN: 0
; COMPUTE_PGM_RSRC2:TIDIG_COMP_CNT: 0
	.section	.text._ZN2ck16tensor_operation6device12_GLOBAL__N_137kernel_grouped_conv_fwd_dl_multiple_dINS_32GridwiseGemmDlMultipleD_km_kn_mnILi256EDF16_fNS_5TupleIJDF16_EEEDF16_NS0_12element_wise11PassThroughES8_NS7_7AddReluELNS_25InMemoryDataOperationEnumE0ENS_16TensorDescriptorINS5_IJNS_5EmbedINS5_IJiiiiEEESD_Lb0EEENS_11PassThroughIiEENS_3PadIiiiLb0EEESI_SG_SG_NSC_INS5_IJiiEEESJ_Lb0EEESK_SG_NS_23Merge_v2_magic_divisionINS5_IJiiiEEEEESN_NS_8RightPadIiiLb0EEESP_NS_7UnMergeISJ_Lb0EEESG_EEENS5_IJNS_8SequenceIJLi0EEEENST_IJLi1EEEENST_IJLi2EEEENST_IJLi3EEEENST_IJLi4EEEENST_IJLi5EEEENST_IJLi6EEEENST_IJLi7EEEENST_IJLi8EEEENST_IJLi9ELi11ELi13EEEENST_IJLi10ELi12ELi14EEEENST_IJLi15EEEENST_IJLi16EEEENST_IJLi18EEEENST_IJLi17EEEEEEENS5_IJNST_IJLi1ELi2ELi3ELi4EEEESZ_S10_S11_S12_NST_IJLi9EEEENST_IJLi10ELi11EEEENST_IJLi12ELi13EEEENST_IJLi14EEEES15_S16_S18_S17_NST_IJLi19ELi20EEEENST_IJLi21EEEEEEENST_IJLi19ELi21ELi20EEEElEENSB_INS5_IJSR_SP_SP_SR_SG_EEENS5_IJSU_SV_SW_SY_SX_EEENS5_IJNST_IJLi1ELi2EEEESX_SY_NST_IJLi5ELi6EEEES11_EEENST_IJLi5ELi7ELi6EEEElEENSB_INS5_IJSK_SP_SP_EEENS5_IJSU_SV_SW_EEENS5_IJS1M_SX_SY_EEENST_IJLi3ELi4EEEElEELi128ELi128ELi16ELi2ELi4ELi4ELi1ENST_IJLi8ELi2EEEES1W_NST_IJLi8ELi1ELi1ELi2EEEENST_IJLi2ELi1ELi128ELi1EEEENST_IJLi1ELi2ELi0ELi3EEEES1Z_NST_IJLi4ELi1ELi1ELi2EEEES1Z_NST_IJLi1ELi1ELi1ELi2EEEES1X_S1Y_S1Z_S1Z_S20_S1Z_S21_NST_IJLi0ELi1ELi2ELi3ELi4ELi5EEEELi5ELi4EEEDF16_NS5_IJPKDF16_EEEDF16_S8_S8_S9_NSB_INS5_IJSE_SG_SI_SI_SG_SG_SK_SK_SG_SN_SN_SP_SP_SR_SG_SG_NSQ_INS5_IJiNS_17integral_constantIiLi128EEEEEELb0EEENSF_INS27_IiLi2EEEEEEEENS5_IJSU_SV_SW_SX_SY_SZ_S10_S11_S12_S13_S14_S15_S16_S17_S18_NST_IJLi19EEEES1G_NST_IJLi20EEEEEEENS5_IJS1A_SZ_S10_S11_S12_S1B_S1C_S1D_S1E_S15_S16_S18_S17_S1F_S1G_NST_IJLi22EEEENST_IJLi23ELi24EEEENST_IJLi25EEEEEEENST_IJLi22ELi23ELi24ELi25EEEElEENSB_INS5_IJSR_SP_SP_SR_SG_SG_S2A_S2C_EEENS5_IJSU_SV_SW_SY_SX_SZ_S11_S10_EEENS5_IJS1M_SX_SY_S1N_S11_S12_NST_IJLi9ELi10EEEENST_IJLi11EEEEEEENST_IJLi8ELi9ELi10ELi11EEEElEENS5_IJNSB_INS5_IJSK_SP_SP_NSQ_INS5_IJiS2B_NS27_IiLi64EEEEEELb0EEES2W_EEENS5_IJSU_SV_SW_SX_SY_EEENS5_IJS1M_SX_SY_NST_IJLi5ELi6ELi7EEEENST_IJLi8ELi9ELi10EEEEEEENST_IJLi5ELi6ELi7ELi8ELi9ELi10EEEElEEEEES33_NS_31BlockToCTileMap_M00_N00_M01_N01ILi128ELi128ES1V_Lb0EEENS1_30ComputePtrOffsetOfStridedBatchILi1ELi1ELi1EvEELb1ELb1EEEvPKT0_S3B_T1_PT2_T3_T4_T5_iT6_T7_T8_T9_T10_T11_,"axG",@progbits,_ZN2ck16tensor_operation6device12_GLOBAL__N_137kernel_grouped_conv_fwd_dl_multiple_dINS_32GridwiseGemmDlMultipleD_km_kn_mnILi256EDF16_fNS_5TupleIJDF16_EEEDF16_NS0_12element_wise11PassThroughES8_NS7_7AddReluELNS_25InMemoryDataOperationEnumE0ENS_16TensorDescriptorINS5_IJNS_5EmbedINS5_IJiiiiEEESD_Lb0EEENS_11PassThroughIiEENS_3PadIiiiLb0EEESI_SG_SG_NSC_INS5_IJiiEEESJ_Lb0EEESK_SG_NS_23Merge_v2_magic_divisionINS5_IJiiiEEEEESN_NS_8RightPadIiiLb0EEESP_NS_7UnMergeISJ_Lb0EEESG_EEENS5_IJNS_8SequenceIJLi0EEEENST_IJLi1EEEENST_IJLi2EEEENST_IJLi3EEEENST_IJLi4EEEENST_IJLi5EEEENST_IJLi6EEEENST_IJLi7EEEENST_IJLi8EEEENST_IJLi9ELi11ELi13EEEENST_IJLi10ELi12ELi14EEEENST_IJLi15EEEENST_IJLi16EEEENST_IJLi18EEEENST_IJLi17EEEEEEENS5_IJNST_IJLi1ELi2ELi3ELi4EEEESZ_S10_S11_S12_NST_IJLi9EEEENST_IJLi10ELi11EEEENST_IJLi12ELi13EEEENST_IJLi14EEEES15_S16_S18_S17_NST_IJLi19ELi20EEEENST_IJLi21EEEEEEENST_IJLi19ELi21ELi20EEEElEENSB_INS5_IJSR_SP_SP_SR_SG_EEENS5_IJSU_SV_SW_SY_SX_EEENS5_IJNST_IJLi1ELi2EEEESX_SY_NST_IJLi5ELi6EEEES11_EEENST_IJLi5ELi7ELi6EEEElEENSB_INS5_IJSK_SP_SP_EEENS5_IJSU_SV_SW_EEENS5_IJS1M_SX_SY_EEENST_IJLi3ELi4EEEElEELi128ELi128ELi16ELi2ELi4ELi4ELi1ENST_IJLi8ELi2EEEES1W_NST_IJLi8ELi1ELi1ELi2EEEENST_IJLi2ELi1ELi128ELi1EEEENST_IJLi1ELi2ELi0ELi3EEEES1Z_NST_IJLi4ELi1ELi1ELi2EEEES1Z_NST_IJLi1ELi1ELi1ELi2EEEES1X_S1Y_S1Z_S1Z_S20_S1Z_S21_NST_IJLi0ELi1ELi2ELi3ELi4ELi5EEEELi5ELi4EEEDF16_NS5_IJPKDF16_EEEDF16_S8_S8_S9_NSB_INS5_IJSE_SG_SI_SI_SG_SG_SK_SK_SG_SN_SN_SP_SP_SR_SG_SG_NSQ_INS5_IJiNS_17integral_constantIiLi128EEEEEELb0EEENSF_INS27_IiLi2EEEEEEEENS5_IJSU_SV_SW_SX_SY_SZ_S10_S11_S12_S13_S14_S15_S16_S17_S18_NST_IJLi19EEEES1G_NST_IJLi20EEEEEEENS5_IJS1A_SZ_S10_S11_S12_S1B_S1C_S1D_S1E_S15_S16_S18_S17_S1F_S1G_NST_IJLi22EEEENST_IJLi23ELi24EEEENST_IJLi25EEEEEEENST_IJLi22ELi23ELi24ELi25EEEElEENSB_INS5_IJSR_SP_SP_SR_SG_SG_S2A_S2C_EEENS5_IJSU_SV_SW_SY_SX_SZ_S11_S10_EEENS5_IJS1M_SX_SY_S1N_S11_S12_NST_IJLi9ELi10EEEENST_IJLi11EEEEEEENST_IJLi8ELi9ELi10ELi11EEEElEENS5_IJNSB_INS5_IJSK_SP_SP_NSQ_INS5_IJiS2B_NS27_IiLi64EEEEEELb0EEES2W_EEENS5_IJSU_SV_SW_SX_SY_EEENS5_IJS1M_SX_SY_NST_IJLi5ELi6ELi7EEEENST_IJLi8ELi9ELi10EEEEEEENST_IJLi5ELi6ELi7ELi8ELi9ELi10EEEElEEEEES33_NS_31BlockToCTileMap_M00_N00_M01_N01ILi128ELi128ES1V_Lb0EEENS1_30ComputePtrOffsetOfStridedBatchILi1ELi1ELi1EvEELb1ELb1EEEvPKT0_S3B_T1_PT2_T3_T4_T5_iT6_T7_T8_T9_T10_T11_,comdat
	.globl	_ZN2ck16tensor_operation6device12_GLOBAL__N_137kernel_grouped_conv_fwd_dl_multiple_dINS_32GridwiseGemmDlMultipleD_km_kn_mnILi256EDF16_fNS_5TupleIJDF16_EEEDF16_NS0_12element_wise11PassThroughES8_NS7_7AddReluELNS_25InMemoryDataOperationEnumE0ENS_16TensorDescriptorINS5_IJNS_5EmbedINS5_IJiiiiEEESD_Lb0EEENS_11PassThroughIiEENS_3PadIiiiLb0EEESI_SG_SG_NSC_INS5_IJiiEEESJ_Lb0EEESK_SG_NS_23Merge_v2_magic_divisionINS5_IJiiiEEEEESN_NS_8RightPadIiiLb0EEESP_NS_7UnMergeISJ_Lb0EEESG_EEENS5_IJNS_8SequenceIJLi0EEEENST_IJLi1EEEENST_IJLi2EEEENST_IJLi3EEEENST_IJLi4EEEENST_IJLi5EEEENST_IJLi6EEEENST_IJLi7EEEENST_IJLi8EEEENST_IJLi9ELi11ELi13EEEENST_IJLi10ELi12ELi14EEEENST_IJLi15EEEENST_IJLi16EEEENST_IJLi18EEEENST_IJLi17EEEEEEENS5_IJNST_IJLi1ELi2ELi3ELi4EEEESZ_S10_S11_S12_NST_IJLi9EEEENST_IJLi10ELi11EEEENST_IJLi12ELi13EEEENST_IJLi14EEEES15_S16_S18_S17_NST_IJLi19ELi20EEEENST_IJLi21EEEEEEENST_IJLi19ELi21ELi20EEEElEENSB_INS5_IJSR_SP_SP_SR_SG_EEENS5_IJSU_SV_SW_SY_SX_EEENS5_IJNST_IJLi1ELi2EEEESX_SY_NST_IJLi5ELi6EEEES11_EEENST_IJLi5ELi7ELi6EEEElEENSB_INS5_IJSK_SP_SP_EEENS5_IJSU_SV_SW_EEENS5_IJS1M_SX_SY_EEENST_IJLi3ELi4EEEElEELi128ELi128ELi16ELi2ELi4ELi4ELi1ENST_IJLi8ELi2EEEES1W_NST_IJLi8ELi1ELi1ELi2EEEENST_IJLi2ELi1ELi128ELi1EEEENST_IJLi1ELi2ELi0ELi3EEEES1Z_NST_IJLi4ELi1ELi1ELi2EEEES1Z_NST_IJLi1ELi1ELi1ELi2EEEES1X_S1Y_S1Z_S1Z_S20_S1Z_S21_NST_IJLi0ELi1ELi2ELi3ELi4ELi5EEEELi5ELi4EEEDF16_NS5_IJPKDF16_EEEDF16_S8_S8_S9_NSB_INS5_IJSE_SG_SI_SI_SG_SG_SK_SK_SG_SN_SN_SP_SP_SR_SG_SG_NSQ_INS5_IJiNS_17integral_constantIiLi128EEEEEELb0EEENSF_INS27_IiLi2EEEEEEEENS5_IJSU_SV_SW_SX_SY_SZ_S10_S11_S12_S13_S14_S15_S16_S17_S18_NST_IJLi19EEEES1G_NST_IJLi20EEEEEEENS5_IJS1A_SZ_S10_S11_S12_S1B_S1C_S1D_S1E_S15_S16_S18_S17_S1F_S1G_NST_IJLi22EEEENST_IJLi23ELi24EEEENST_IJLi25EEEEEEENST_IJLi22ELi23ELi24ELi25EEEElEENSB_INS5_IJSR_SP_SP_SR_SG_SG_S2A_S2C_EEENS5_IJSU_SV_SW_SY_SX_SZ_S11_S10_EEENS5_IJS1M_SX_SY_S1N_S11_S12_NST_IJLi9ELi10EEEENST_IJLi11EEEEEEENST_IJLi8ELi9ELi10ELi11EEEElEENS5_IJNSB_INS5_IJSK_SP_SP_NSQ_INS5_IJiS2B_NS27_IiLi64EEEEEELb0EEES2W_EEENS5_IJSU_SV_SW_SX_SY_EEENS5_IJS1M_SX_SY_NST_IJLi5ELi6ELi7EEEENST_IJLi8ELi9ELi10EEEEEEENST_IJLi5ELi6ELi7ELi8ELi9ELi10EEEElEEEEES33_NS_31BlockToCTileMap_M00_N00_M01_N01ILi128ELi128ES1V_Lb0EEENS1_30ComputePtrOffsetOfStridedBatchILi1ELi1ELi1EvEELb1ELb1EEEvPKT0_S3B_T1_PT2_T3_T4_T5_iT6_T7_T8_T9_T10_T11_ ; -- Begin function _ZN2ck16tensor_operation6device12_GLOBAL__N_137kernel_grouped_conv_fwd_dl_multiple_dINS_32GridwiseGemmDlMultipleD_km_kn_mnILi256EDF16_fNS_5TupleIJDF16_EEEDF16_NS0_12element_wise11PassThroughES8_NS7_7AddReluELNS_25InMemoryDataOperationEnumE0ENS_16TensorDescriptorINS5_IJNS_5EmbedINS5_IJiiiiEEESD_Lb0EEENS_11PassThroughIiEENS_3PadIiiiLb0EEESI_SG_SG_NSC_INS5_IJiiEEESJ_Lb0EEESK_SG_NS_23Merge_v2_magic_divisionINS5_IJiiiEEEEESN_NS_8RightPadIiiLb0EEESP_NS_7UnMergeISJ_Lb0EEESG_EEENS5_IJNS_8SequenceIJLi0EEEENST_IJLi1EEEENST_IJLi2EEEENST_IJLi3EEEENST_IJLi4EEEENST_IJLi5EEEENST_IJLi6EEEENST_IJLi7EEEENST_IJLi8EEEENST_IJLi9ELi11ELi13EEEENST_IJLi10ELi12ELi14EEEENST_IJLi15EEEENST_IJLi16EEEENST_IJLi18EEEENST_IJLi17EEEEEEENS5_IJNST_IJLi1ELi2ELi3ELi4EEEESZ_S10_S11_S12_NST_IJLi9EEEENST_IJLi10ELi11EEEENST_IJLi12ELi13EEEENST_IJLi14EEEES15_S16_S18_S17_NST_IJLi19ELi20EEEENST_IJLi21EEEEEEENST_IJLi19ELi21ELi20EEEElEENSB_INS5_IJSR_SP_SP_SR_SG_EEENS5_IJSU_SV_SW_SY_SX_EEENS5_IJNST_IJLi1ELi2EEEESX_SY_NST_IJLi5ELi6EEEES11_EEENST_IJLi5ELi7ELi6EEEElEENSB_INS5_IJSK_SP_SP_EEENS5_IJSU_SV_SW_EEENS5_IJS1M_SX_SY_EEENST_IJLi3ELi4EEEElEELi128ELi128ELi16ELi2ELi4ELi4ELi1ENST_IJLi8ELi2EEEES1W_NST_IJLi8ELi1ELi1ELi2EEEENST_IJLi2ELi1ELi128ELi1EEEENST_IJLi1ELi2ELi0ELi3EEEES1Z_NST_IJLi4ELi1ELi1ELi2EEEES1Z_NST_IJLi1ELi1ELi1ELi2EEEES1X_S1Y_S1Z_S1Z_S20_S1Z_S21_NST_IJLi0ELi1ELi2ELi3ELi4ELi5EEEELi5ELi4EEEDF16_NS5_IJPKDF16_EEEDF16_S8_S8_S9_NSB_INS5_IJSE_SG_SI_SI_SG_SG_SK_SK_SG_SN_SN_SP_SP_SR_SG_SG_NSQ_INS5_IJiNS_17integral_constantIiLi128EEEEEELb0EEENSF_INS27_IiLi2EEEEEEEENS5_IJSU_SV_SW_SX_SY_SZ_S10_S11_S12_S13_S14_S15_S16_S17_S18_NST_IJLi19EEEES1G_NST_IJLi20EEEEEEENS5_IJS1A_SZ_S10_S11_S12_S1B_S1C_S1D_S1E_S15_S16_S18_S17_S1F_S1G_NST_IJLi22EEEENST_IJLi23ELi24EEEENST_IJLi25EEEEEEENST_IJLi22ELi23ELi24ELi25EEEElEENSB_INS5_IJSR_SP_SP_SR_SG_SG_S2A_S2C_EEENS5_IJSU_SV_SW_SY_SX_SZ_S11_S10_EEENS5_IJS1M_SX_SY_S1N_S11_S12_NST_IJLi9ELi10EEEENST_IJLi11EEEEEEENST_IJLi8ELi9ELi10ELi11EEEElEENS5_IJNSB_INS5_IJSK_SP_SP_NSQ_INS5_IJiS2B_NS27_IiLi64EEEEEELb0EEES2W_EEENS5_IJSU_SV_SW_SX_SY_EEENS5_IJS1M_SX_SY_NST_IJLi5ELi6ELi7EEEENST_IJLi8ELi9ELi10EEEEEEENST_IJLi5ELi6ELi7ELi8ELi9ELi10EEEElEEEEES33_NS_31BlockToCTileMap_M00_N00_M01_N01ILi128ELi128ES1V_Lb0EEENS1_30ComputePtrOffsetOfStridedBatchILi1ELi1ELi1EvEELb1ELb1EEEvPKT0_S3B_T1_PT2_T3_T4_T5_iT6_T7_T8_T9_T10_T11_
	.p2align	8
	.type	_ZN2ck16tensor_operation6device12_GLOBAL__N_137kernel_grouped_conv_fwd_dl_multiple_dINS_32GridwiseGemmDlMultipleD_km_kn_mnILi256EDF16_fNS_5TupleIJDF16_EEEDF16_NS0_12element_wise11PassThroughES8_NS7_7AddReluELNS_25InMemoryDataOperationEnumE0ENS_16TensorDescriptorINS5_IJNS_5EmbedINS5_IJiiiiEEESD_Lb0EEENS_11PassThroughIiEENS_3PadIiiiLb0EEESI_SG_SG_NSC_INS5_IJiiEEESJ_Lb0EEESK_SG_NS_23Merge_v2_magic_divisionINS5_IJiiiEEEEESN_NS_8RightPadIiiLb0EEESP_NS_7UnMergeISJ_Lb0EEESG_EEENS5_IJNS_8SequenceIJLi0EEEENST_IJLi1EEEENST_IJLi2EEEENST_IJLi3EEEENST_IJLi4EEEENST_IJLi5EEEENST_IJLi6EEEENST_IJLi7EEEENST_IJLi8EEEENST_IJLi9ELi11ELi13EEEENST_IJLi10ELi12ELi14EEEENST_IJLi15EEEENST_IJLi16EEEENST_IJLi18EEEENST_IJLi17EEEEEEENS5_IJNST_IJLi1ELi2ELi3ELi4EEEESZ_S10_S11_S12_NST_IJLi9EEEENST_IJLi10ELi11EEEENST_IJLi12ELi13EEEENST_IJLi14EEEES15_S16_S18_S17_NST_IJLi19ELi20EEEENST_IJLi21EEEEEEENST_IJLi19ELi21ELi20EEEElEENSB_INS5_IJSR_SP_SP_SR_SG_EEENS5_IJSU_SV_SW_SY_SX_EEENS5_IJNST_IJLi1ELi2EEEESX_SY_NST_IJLi5ELi6EEEES11_EEENST_IJLi5ELi7ELi6EEEElEENSB_INS5_IJSK_SP_SP_EEENS5_IJSU_SV_SW_EEENS5_IJS1M_SX_SY_EEENST_IJLi3ELi4EEEElEELi128ELi128ELi16ELi2ELi4ELi4ELi1ENST_IJLi8ELi2EEEES1W_NST_IJLi8ELi1ELi1ELi2EEEENST_IJLi2ELi1ELi128ELi1EEEENST_IJLi1ELi2ELi0ELi3EEEES1Z_NST_IJLi4ELi1ELi1ELi2EEEES1Z_NST_IJLi1ELi1ELi1ELi2EEEES1X_S1Y_S1Z_S1Z_S20_S1Z_S21_NST_IJLi0ELi1ELi2ELi3ELi4ELi5EEEELi5ELi4EEEDF16_NS5_IJPKDF16_EEEDF16_S8_S8_S9_NSB_INS5_IJSE_SG_SI_SI_SG_SG_SK_SK_SG_SN_SN_SP_SP_SR_SG_SG_NSQ_INS5_IJiNS_17integral_constantIiLi128EEEEEELb0EEENSF_INS27_IiLi2EEEEEEEENS5_IJSU_SV_SW_SX_SY_SZ_S10_S11_S12_S13_S14_S15_S16_S17_S18_NST_IJLi19EEEES1G_NST_IJLi20EEEEEEENS5_IJS1A_SZ_S10_S11_S12_S1B_S1C_S1D_S1E_S15_S16_S18_S17_S1F_S1G_NST_IJLi22EEEENST_IJLi23ELi24EEEENST_IJLi25EEEEEEENST_IJLi22ELi23ELi24ELi25EEEElEENSB_INS5_IJSR_SP_SP_SR_SG_SG_S2A_S2C_EEENS5_IJSU_SV_SW_SY_SX_SZ_S11_S10_EEENS5_IJS1M_SX_SY_S1N_S11_S12_NST_IJLi9ELi10EEEENST_IJLi11EEEEEEENST_IJLi8ELi9ELi10ELi11EEEElEENS5_IJNSB_INS5_IJSK_SP_SP_NSQ_INS5_IJiS2B_NS27_IiLi64EEEEEELb0EEES2W_EEENS5_IJSU_SV_SW_SX_SY_EEENS5_IJS1M_SX_SY_NST_IJLi5ELi6ELi7EEEENST_IJLi8ELi9ELi10EEEEEEENST_IJLi5ELi6ELi7ELi8ELi9ELi10EEEElEEEEES33_NS_31BlockToCTileMap_M00_N00_M01_N01ILi128ELi128ES1V_Lb0EEENS1_30ComputePtrOffsetOfStridedBatchILi1ELi1ELi1EvEELb1ELb1EEEvPKT0_S3B_T1_PT2_T3_T4_T5_iT6_T7_T8_T9_T10_T11_,@function
_ZN2ck16tensor_operation6device12_GLOBAL__N_137kernel_grouped_conv_fwd_dl_multiple_dINS_32GridwiseGemmDlMultipleD_km_kn_mnILi256EDF16_fNS_5TupleIJDF16_EEEDF16_NS0_12element_wise11PassThroughES8_NS7_7AddReluELNS_25InMemoryDataOperationEnumE0ENS_16TensorDescriptorINS5_IJNS_5EmbedINS5_IJiiiiEEESD_Lb0EEENS_11PassThroughIiEENS_3PadIiiiLb0EEESI_SG_SG_NSC_INS5_IJiiEEESJ_Lb0EEESK_SG_NS_23Merge_v2_magic_divisionINS5_IJiiiEEEEESN_NS_8RightPadIiiLb0EEESP_NS_7UnMergeISJ_Lb0EEESG_EEENS5_IJNS_8SequenceIJLi0EEEENST_IJLi1EEEENST_IJLi2EEEENST_IJLi3EEEENST_IJLi4EEEENST_IJLi5EEEENST_IJLi6EEEENST_IJLi7EEEENST_IJLi8EEEENST_IJLi9ELi11ELi13EEEENST_IJLi10ELi12ELi14EEEENST_IJLi15EEEENST_IJLi16EEEENST_IJLi18EEEENST_IJLi17EEEEEEENS5_IJNST_IJLi1ELi2ELi3ELi4EEEESZ_S10_S11_S12_NST_IJLi9EEEENST_IJLi10ELi11EEEENST_IJLi12ELi13EEEENST_IJLi14EEEES15_S16_S18_S17_NST_IJLi19ELi20EEEENST_IJLi21EEEEEEENST_IJLi19ELi21ELi20EEEElEENSB_INS5_IJSR_SP_SP_SR_SG_EEENS5_IJSU_SV_SW_SY_SX_EEENS5_IJNST_IJLi1ELi2EEEESX_SY_NST_IJLi5ELi6EEEES11_EEENST_IJLi5ELi7ELi6EEEElEENSB_INS5_IJSK_SP_SP_EEENS5_IJSU_SV_SW_EEENS5_IJS1M_SX_SY_EEENST_IJLi3ELi4EEEElEELi128ELi128ELi16ELi2ELi4ELi4ELi1ENST_IJLi8ELi2EEEES1W_NST_IJLi8ELi1ELi1ELi2EEEENST_IJLi2ELi1ELi128ELi1EEEENST_IJLi1ELi2ELi0ELi3EEEES1Z_NST_IJLi4ELi1ELi1ELi2EEEES1Z_NST_IJLi1ELi1ELi1ELi2EEEES1X_S1Y_S1Z_S1Z_S20_S1Z_S21_NST_IJLi0ELi1ELi2ELi3ELi4ELi5EEEELi5ELi4EEEDF16_NS5_IJPKDF16_EEEDF16_S8_S8_S9_NSB_INS5_IJSE_SG_SI_SI_SG_SG_SK_SK_SG_SN_SN_SP_SP_SR_SG_SG_NSQ_INS5_IJiNS_17integral_constantIiLi128EEEEEELb0EEENSF_INS27_IiLi2EEEEEEEENS5_IJSU_SV_SW_SX_SY_SZ_S10_S11_S12_S13_S14_S15_S16_S17_S18_NST_IJLi19EEEES1G_NST_IJLi20EEEEEEENS5_IJS1A_SZ_S10_S11_S12_S1B_S1C_S1D_S1E_S15_S16_S18_S17_S1F_S1G_NST_IJLi22EEEENST_IJLi23ELi24EEEENST_IJLi25EEEEEEENST_IJLi22ELi23ELi24ELi25EEEElEENSB_INS5_IJSR_SP_SP_SR_SG_SG_S2A_S2C_EEENS5_IJSU_SV_SW_SY_SX_SZ_S11_S10_EEENS5_IJS1M_SX_SY_S1N_S11_S12_NST_IJLi9ELi10EEEENST_IJLi11EEEEEEENST_IJLi8ELi9ELi10ELi11EEEElEENS5_IJNSB_INS5_IJSK_SP_SP_NSQ_INS5_IJiS2B_NS27_IiLi64EEEEEELb0EEES2W_EEENS5_IJSU_SV_SW_SX_SY_EEENS5_IJS1M_SX_SY_NST_IJLi5ELi6ELi7EEEENST_IJLi8ELi9ELi10EEEEEEENST_IJLi5ELi6ELi7ELi8ELi9ELi10EEEElEEEEES33_NS_31BlockToCTileMap_M00_N00_M01_N01ILi128ELi128ES1V_Lb0EEENS1_30ComputePtrOffsetOfStridedBatchILi1ELi1ELi1EvEELb1ELb1EEEvPKT0_S3B_T1_PT2_T3_T4_T5_iT6_T7_T8_T9_T10_T11_: ; @_ZN2ck16tensor_operation6device12_GLOBAL__N_137kernel_grouped_conv_fwd_dl_multiple_dINS_32GridwiseGemmDlMultipleD_km_kn_mnILi256EDF16_fNS_5TupleIJDF16_EEEDF16_NS0_12element_wise11PassThroughES8_NS7_7AddReluELNS_25InMemoryDataOperationEnumE0ENS_16TensorDescriptorINS5_IJNS_5EmbedINS5_IJiiiiEEESD_Lb0EEENS_11PassThroughIiEENS_3PadIiiiLb0EEESI_SG_SG_NSC_INS5_IJiiEEESJ_Lb0EEESK_SG_NS_23Merge_v2_magic_divisionINS5_IJiiiEEEEESN_NS_8RightPadIiiLb0EEESP_NS_7UnMergeISJ_Lb0EEESG_EEENS5_IJNS_8SequenceIJLi0EEEENST_IJLi1EEEENST_IJLi2EEEENST_IJLi3EEEENST_IJLi4EEEENST_IJLi5EEEENST_IJLi6EEEENST_IJLi7EEEENST_IJLi8EEEENST_IJLi9ELi11ELi13EEEENST_IJLi10ELi12ELi14EEEENST_IJLi15EEEENST_IJLi16EEEENST_IJLi18EEEENST_IJLi17EEEEEEENS5_IJNST_IJLi1ELi2ELi3ELi4EEEESZ_S10_S11_S12_NST_IJLi9EEEENST_IJLi10ELi11EEEENST_IJLi12ELi13EEEENST_IJLi14EEEES15_S16_S18_S17_NST_IJLi19ELi20EEEENST_IJLi21EEEEEEENST_IJLi19ELi21ELi20EEEElEENSB_INS5_IJSR_SP_SP_SR_SG_EEENS5_IJSU_SV_SW_SY_SX_EEENS5_IJNST_IJLi1ELi2EEEESX_SY_NST_IJLi5ELi6EEEES11_EEENST_IJLi5ELi7ELi6EEEElEENSB_INS5_IJSK_SP_SP_EEENS5_IJSU_SV_SW_EEENS5_IJS1M_SX_SY_EEENST_IJLi3ELi4EEEElEELi128ELi128ELi16ELi2ELi4ELi4ELi1ENST_IJLi8ELi2EEEES1W_NST_IJLi8ELi1ELi1ELi2EEEENST_IJLi2ELi1ELi128ELi1EEEENST_IJLi1ELi2ELi0ELi3EEEES1Z_NST_IJLi4ELi1ELi1ELi2EEEES1Z_NST_IJLi1ELi1ELi1ELi2EEEES1X_S1Y_S1Z_S1Z_S20_S1Z_S21_NST_IJLi0ELi1ELi2ELi3ELi4ELi5EEEELi5ELi4EEEDF16_NS5_IJPKDF16_EEEDF16_S8_S8_S9_NSB_INS5_IJSE_SG_SI_SI_SG_SG_SK_SK_SG_SN_SN_SP_SP_SR_SG_SG_NSQ_INS5_IJiNS_17integral_constantIiLi128EEEEEELb0EEENSF_INS27_IiLi2EEEEEEEENS5_IJSU_SV_SW_SX_SY_SZ_S10_S11_S12_S13_S14_S15_S16_S17_S18_NST_IJLi19EEEES1G_NST_IJLi20EEEEEEENS5_IJS1A_SZ_S10_S11_S12_S1B_S1C_S1D_S1E_S15_S16_S18_S17_S1F_S1G_NST_IJLi22EEEENST_IJLi23ELi24EEEENST_IJLi25EEEEEEENST_IJLi22ELi23ELi24ELi25EEEElEENSB_INS5_IJSR_SP_SP_SR_SG_SG_S2A_S2C_EEENS5_IJSU_SV_SW_SY_SX_SZ_S11_S10_EEENS5_IJS1M_SX_SY_S1N_S11_S12_NST_IJLi9ELi10EEEENST_IJLi11EEEEEEENST_IJLi8ELi9ELi10ELi11EEEElEENS5_IJNSB_INS5_IJSK_SP_SP_NSQ_INS5_IJiS2B_NS27_IiLi64EEEEEELb0EEES2W_EEENS5_IJSU_SV_SW_SX_SY_EEENS5_IJS1M_SX_SY_NST_IJLi5ELi6ELi7EEEENST_IJLi8ELi9ELi10EEEEEEENST_IJLi5ELi6ELi7ELi8ELi9ELi10EEEElEEEEES33_NS_31BlockToCTileMap_M00_N00_M01_N01ILi128ELi128ES1V_Lb0EEENS1_30ComputePtrOffsetOfStridedBatchILi1ELi1ELi1EvEELb1ELb1EEEvPKT0_S3B_T1_PT2_T3_T4_T5_iT6_T7_T8_T9_T10_T11_
; %bb.0:
	s_clause 0x6
	s_load_b32 s2, s[0:1], 0x24
	s_load_b128 s[24:27], s[0:1], 0x38
	s_load_b32 s4, s[0:1], 0x2c8
	s_load_b256 s[16:23], s[0:1], 0x2a0
	s_load_b32 s31, s[0:1], 0x244
	s_load_b64 s[56:57], s[0:1], 0xd4
	s_load_b32 s38, s[0:1], 0x254
	v_lshrrev_b32_e32 v9, 1, v0
	v_mov_b32_e32 v163, 0
	v_mov_b32_e32 v137, 0
	v_dual_mov_b32 v109, 0 :: v_dual_mov_b32 v142, 0
	v_dual_mov_b32 v135, 0 :: v_dual_mov_b32 v102, 0
	v_dual_mov_b32 v105, 0 :: v_dual_mov_b32 v144, 0
	v_dual_mov_b32 v141, 0 :: v_dual_mov_b32 v100, 0
	v_dual_mov_b32 v107, 0 :: v_dual_mov_b32 v146, 0
	s_waitcnt lgkmcnt(0)
	s_abs_i32 s3, s2
	v_dual_mov_b32 v143, 0 :: v_dual_mov_b32 v118, 0
	v_cvt_f32_u32_e32 v1, s3
	s_sub_i32 s6, 0, s3
	s_abs_i32 s7, s4
	s_xor_b32 s2, s4, s2
	v_dual_mov_b32 v103, 0 :: v_dual_mov_b32 v148, 0
	v_rcp_iflag_f32_e32 v1, v1
	s_ashr_i32 s2, s2, 31
	v_dual_mov_b32 v145, 0 :: v_dual_mov_b32 v116, 0
	v_dual_mov_b32 v101, 0 :: v_dual_mov_b32 v150, 0
	;; [unrolled: 1-line block ×4, first 2 shown]
	s_waitcnt_depctr 0xfff
	v_mul_f32_e32 v1, 0x4f7ffffe, v1
	v_dual_mov_b32 v149, 0 :: v_dual_mov_b32 v122, 0
	v_dual_mov_b32 v115, 0 :: v_dual_mov_b32 v154, 0
	s_delay_alu instid0(VALU_DEP_3) | instskip(SKIP_2) | instid1(VALU_DEP_3)
	v_cvt_u32_f32_e32 v1, v1
	v_dual_mov_b32 v151, 0 :: v_dual_mov_b32 v126, 0
	v_dual_mov_b32 v121, 0 :: v_dual_mov_b32 v156, 0
	v_readfirstlane_b32 s5, v1
	v_dual_mov_b32 v153, 0 :: v_dual_mov_b32 v124, 0
	v_dual_mov_b32 v123, 0 :: v_dual_mov_b32 v158, 0
	s_delay_alu instid0(VALU_DEP_3)
	s_mul_i32 s6, s6, s5
	v_dual_mov_b32 v155, 0 :: v_dual_mov_b32 v128, 0
	s_mul_hi_u32 s6, s5, s6
	v_dual_mov_b32 v127, 0 :: v_dual_mov_b32 v160, 0
	s_add_i32 s5, s5, s6
	v_dual_mov_b32 v157, 0 :: v_dual_mov_b32 v134, 0
	s_mul_hi_u32 s5, s7, s5
	v_dual_mov_b32 v125, 0 :: v_dual_mov_b32 v162, 0
	s_mul_i32 s4, s5, s3
	s_add_i32 s6, s5, 1
	s_sub_i32 s4, s7, s4
	v_dual_mov_b32 v159, 0 :: v_dual_mov_b32 v114, 0
	s_sub_i32 s7, s4, s3
	s_cmp_ge_u32 s4, s3
	v_dual_mov_b32 v129, 0 :: v_dual_mov_b32 v138, 0
	s_cselect_b32 s5, s6, s5
	s_cselect_b32 s4, s7, s4
	s_add_i32 s6, s5, 1
	s_cmp_ge_u32 s4, s3
	v_dual_mov_b32 v161, 0 :: v_dual_mov_b32 v112, 0
	s_cselect_b32 s3, s6, s5
	s_abs_i32 s28, s15
	s_xor_b32 s3, s3, s2
	s_clause 0x1
	s_load_b128 s[4:7], s[0:1], 0x0
	s_load_b64 s[48:49], s[0:1], 0x18
	s_sub_i32 s8, s3, s2
	s_clause 0x2
	s_load_b64 s[2:3], s[0:1], 0xac
	s_load_b64 s[46:47], s[0:1], 0xbc
	;; [unrolled: 1-line block ×3, first 2 shown]
	s_abs_i32 s9, s8
	s_xor_b32 s8, s15, s8
	v_cvt_f32_u32_e32 v1, s9
	s_sub_i32 s11, 0, s9
	s_ashr_i32 s29, s8, 31
	s_clause 0x5
	s_load_b32 s13, s[0:1], 0x100
	s_load_b32 s68, s[0:1], 0x10c
	;; [unrolled: 1-line block ×6, first 2 shown]
	s_mov_b32 s62, 0
	v_rcp_iflag_f32_e32 v1, v1
	s_mov_b32 s67, 0
	v_dual_mov_b32 v130, 0 :: v_dual_mov_b32 v111, 0
	v_mov_b32_e32 v110, 0
	v_mov_b32_e32 v108, 0
	;; [unrolled: 1-line block ×5, first 2 shown]
	s_delay_alu instid0(TRANS32_DEP_1) | instskip(SKIP_3) | instid1(VALU_DEP_2)
	v_dual_mov_b32 v140, 0 :: v_dual_mul_f32 v1, 0x4f7ffffe, v1
	v_dual_mov_b32 v131, 0 :: v_dual_mov_b32 v106, 0
	s_waitcnt lgkmcnt(0)
	s_mul_i32 s65, s13, 12
	v_cvt_u32_f32_e32 v1, v1
	s_delay_alu instid0(VALU_DEP_1) | instskip(SKIP_1) | instid1(VALU_DEP_2)
	v_readfirstlane_b32 s10, v1
	v_lshlrev_b32_e32 v1, 3, v0
	s_mul_i32 s11, s11, s10
	s_delay_alu instid0(VALU_DEP_1) | instskip(SKIP_1) | instid1(SALU_CYCLE_1)
	v_and_b32_e32 v2, 8, v1
	s_mul_hi_u32 s11, s10, s11
	s_add_i32 s10, s10, s11
	s_delay_alu instid0(SALU_CYCLE_1) | instskip(NEXT) | instid1(VALU_DEP_1)
	s_mul_hi_u32 s10, s28, s10
	v_or_b32_e32 v1, 4, v2
	s_mul_i32 s11, s10, s9
	v_mul_lo_u32 v14, s13, v2
	s_sub_i32 s8, s28, s11
	s_add_i32 s11, s10, 1
	s_sub_i32 s28, s8, s9
	s_cmp_ge_u32 s8, s9
	v_mul_lo_u32 v3, s13, v1
	s_cselect_b32 s10, s11, s10
	s_cselect_b32 s8, s28, s8
	s_add_i32 s11, s10, 1
	s_cmp_ge_u32 s8, s9
	v_mul_hi_u32 v1, v14, s51
	s_cselect_b32 s8, s11, s10
	s_delay_alu instid0(SALU_CYCLE_1)
	s_xor_b32 s28, s8, s29
	s_clause 0x1
	s_load_b128 s[40:43], s[0:1], 0x274
	s_load_b128 s[8:11], s[0:1], 0x288
	s_sub_i32 s63, s28, s29
	v_mul_hi_u32 v4, v3, s51
	s_ashr_i32 s64, s63, 31
	s_mul_hi_u32 s29, s16, s63
	s_mul_i32 s28, s16, s63
	s_mul_i32 s16, s16, s64
	;; [unrolled: 1-line block ×3, first 2 shown]
	s_add_i32 s16, s29, s16
	s_mul_hi_u32 s33, s18, s63
	s_mul_i32 s34, s18, s63
	s_mul_hi_u32 s35, s22, s63
	s_mul_i32 s18, s18, s64
	s_mul_i32 s36, s22, s64
	s_add_i32 s29, s16, s17
	s_mul_i32 s19, s19, s63
	s_mul_i32 s23, s23, s63
	s_add_i32 s18, s33, s18
	s_add_i32 s33, s35, s36
	s_lshl_b64 s[16:17], s[28:29], 1
	s_add_i32 s35, s18, s19
	s_add_i32 s23, s33, s23
	s_add_u32 s28, s4, s16
	s_addc_u32 s29, s5, s17
	s_lshl_b64 s[4:5], s[34:35], 1
	s_waitcnt lgkmcnt(0)
	s_mul_hi_u32 s16, s43, s15
	s_add_u32 s36, s6, s4
	s_addc_u32 s37, s7, s5
	s_add_i32 s16, s15, s16
	s_load_b128 s[4:7], s[0:1], 0x260
	s_lshr_b32 s34, s16, s11
	v_add_nc_u32_e32 v4, v3, v4
	s_mul_hi_u32 s11, s34, s42
	v_add_nc_u32_e32 v1, v14, v1
	s_add_i32 s11, s34, s11
	s_mul_i32 s22, s22, s63
	s_lshr_b32 s35, s11, s10
	s_lshl_b32 s69, s13, 5
	s_mul_hi_u32 s10, s35, s41
	s_sub_i32 s70, 0, s47
	s_add_i32 s10, s35, s10
	s_delay_alu instid0(SALU_CYCLE_1) | instskip(NEXT) | instid1(SALU_CYCLE_1)
	s_lshr_b32 s39, s10, s9
	s_mul_hi_u32 s9, s39, s40
	s_delay_alu instid0(SALU_CYCLE_1) | instskip(NEXT) | instid1(SALU_CYCLE_1)
	s_add_i32 s9, s39, s9
	s_lshr_b32 s8, s9, s8
	s_waitcnt lgkmcnt(0)
	s_mul_i32 s8, s8, s4
	s_mul_i32 s4, s35, s6
	s_sub_i32 s6, s39, s8
	s_sub_i32 s59, s34, s4
	s_mul_i32 s6, s6, s31
	s_clause 0x2
	s_load_b64 s[52:53], s[0:1], 0x74
	s_load_b64 s[54:55], s[0:1], 0x84
	;; [unrolled: 1-line block ×3, first 2 shown]
	s_add_i32 s59, s59, s6
	s_clause 0x1
	s_load_b32 s6, s[0:1], 0x160
	s_load_b64 s[10:11], s[0:1], 0xa0
	v_lshl_or_b32 v41, s59, 7, v9
	v_lshrrev_b32_e32 v6, s57, v4
	v_lshrrev_b32_e32 v5, s57, v1
	s_clause 0x1
	s_load_b128 s[16:19], s[0:1], 0x4c
	s_load_b64 s[44:45], s[0:1], 0x5c
	s_mul_i32 s39, s39, s5
	s_mul_i32 s34, s34, s7
	v_mul_hi_u32 v4, v6, s50
	v_mul_hi_u32 v1, v5, s50
	v_mul_lo_u32 v10, v6, s47
	v_mul_lo_u32 v8, v5, s47
	s_sub_i32 s60, s15, s34
	s_mov_b32 s31, 0x31004000
	s_delay_alu instid0(VALU_DEP_4) | instskip(NEXT) | instid1(VALU_DEP_4)
	v_add_nc_u32_e32 v4, v6, v4
	v_add_nc_u32_e32 v1, v5, v1
	s_delay_alu instid0(VALU_DEP_3)
	v_sub_nc_u32_e32 v8, v14, v8
	s_waitcnt lgkmcnt(0)
	v_mul_lo_u32 v42, s6, v2
	v_mul_hi_u32 v7, v41, s11
	v_lshrrev_b32_e32 v85, s56, v4
	v_lshrrev_b32_e32 v11, s56, v1
	v_sub_nc_u32_e32 v1, v3, v10
	s_sub_i32 s16, s16, s18
	s_mul_i32 s66, s6, 12
	v_mul_lo_u32 v12, v85, s46
	v_mul_lo_u32 v10, v11, s46
	v_add_nc_u32_e32 v7, v41, v7
	v_sub_nc_u32_e32 v15, v1, v8
	v_cmp_gt_i32_e64 s5, s61, v42
	s_lshl_b32 s18, s13, 2
	s_delay_alu instid0(VALU_DEP_3)
	v_lshrrev_b32_e32 v7, s3, v7
	v_sub_nc_u32_e32 v86, v6, v12
	v_sub_nc_u32_e32 v10, v5, v10
	s_clause 0x3
	s_load_b32 s3, s[0:1], 0x188
	s_load_b64 s[40:41], s[0:1], 0x198
	s_load_b32 s33, s[0:1], 0x1a4
	s_load_b32 s58, s[0:1], 0x1b0
	v_mul_hi_u32 v4, v7, s10
	v_mul_lo_u32 v12, v7, s9
	v_mul_lo_u32 v5, v10, s54
	v_sub_nc_u32_e32 v10, v86, v10
	s_delay_alu instid0(VALU_DEP_4) | instskip(NEXT) | instid1(VALU_DEP_4)
	v_add_nc_u32_e32 v13, v7, v4
	v_sub_nc_u32_e32 v12, v41, v12
	v_mul_lo_u32 v4, v11, s52
	v_sub_nc_u32_e32 v11, v85, v11
	v_mul_lo_u32 v44, v10, s54
	v_lshrrev_b32_e32 v6, s2, v13
	s_sub_i32 s2, s35, s39
	s_mov_b32 s39, s31
	s_mul_i32 s2, s2, s38
	s_waitcnt lgkmcnt(0)
	s_lshl_b32 s38, s3, 1
	v_mul_lo_u32 v13, v6, s8
	v_mad_u64_u32 v[22:23], null, v12, s55, v[5:6]
	s_add_i32 s60, s60, s2
	v_mul_lo_u32 v12, v6, s24
	v_lshl_or_b32 v43, s60, 7, v9
	s_lshl_b32 s55, s6, 2
	s_delay_alu instid0(VALU_DEP_4) | instskip(SKIP_1) | instid1(VALU_DEP_3)
	v_sub_nc_u32_e32 v7, v7, v13
	v_or_b32_e32 v13, 36, v2
	v_mul_lo_u32 v84, v43, s30
	s_lshl_b32 s30, s14, 1
	v_cmp_le_i32_e64 s7, s44, v22
	v_mad_u64_u32 v[39:40], null, v7, s53, v[4:5]
	v_mul_lo_u32 v4, v8, s27
	v_mul_lo_u32 v5, v15, s27
	v_subrev_nc_u32_e32 v8, s44, v22
	v_mul_lo_u32 v40, v11, s52
	v_add_nc_u32_e32 v11, v84, v42
	v_add_nc_u32_e32 v171, v22, v44
	v_subrev_nc_u32_e32 v10, s17, v39
	v_cmp_gt_i32_e64 s10, s16, v39
	v_cmp_gt_i32_e64 s2, s12, v43
	v_mad_u64_u32 v[6:7], null, v8, s26, v[4:5]
	s_delay_alu instid0(VALU_DEP_4) | instskip(SKIP_2) | instid1(VALU_DEP_4)
	v_mul_lo_u32 v4, v10, s25
	v_add_lshl_u32 v10, v11, s55, 1
	v_add_nc_u32_e32 v172, v39, v40
	v_mad_u64_u32 v[7:8], null, v40, s25, v[5:6]
	v_mul_lo_u32 v8, v44, s26
	v_add3_u32 v4, v6, v12, v4
	v_lshlrev_b32_e32 v5, 1, v11
	buffer_load_b128 v[27:30], v10, s[36:39], 0 offen
	v_or_b32_e32 v11, 20, v2
	v_or_b32_e32 v12, 32, v2
	;; [unrolled: 1-line block ×3, first 2 shown]
	buffer_load_b128 v[23:26], v5, s[36:39], 0 offen
	v_add3_u32 v92, v7, v8, v4
	v_lshlrev_b32_e32 v4, 1, v4
	v_lshlrev_b32_e32 v8, 2, v9
	v_mul_lo_u32 v9, s6, v10
	v_mul_lo_u32 v10, s13, v10
	v_lshlrev_b32_e32 v5, 1, v92
	s_clause 0x1
	buffer_load_b128 v[31:34], v4, s[28:31], 0 offen
	buffer_load_b128 v[35:38], v5, s[28:31], 0 offen
	v_lshrrev_b32_e32 v4, 5, v0
	v_lshlrev_b32_e32 v5, 1, v0
	v_lshl_or_b32 v168, v2, 9, v8
	v_mul_lo_u32 v8, s6, v11
	v_mul_lo_u32 v11, s13, v11
	v_dual_mov_b32 v133, 0 :: v_dual_lshlrev_b32 v6, 6, v4
	v_and_b32_e32 v7, 0x1f8, v5
	v_lshlrev_b32_e32 v0, 2, v0
	s_clause 0x2
	s_load_b32 s9, s[0:1], 0xe4
	s_load_b32 s53, s[0:1], 0xf0
	s_load_b64 s[14:15], s[0:1], 0x228
	s_waitcnt lgkmcnt(0)
	s_sub_i32 s15, s19, s45
	s_clause 0x2
	s_load_b64 s[42:43], s[0:1], 0x1d8
	s_load_b64 s[34:35], s[0:1], 0x1e8
	s_load_b32 s24, s[0:1], 0x1f4
	v_mov_b32_e32 v20, v11
	v_sub_nc_u32_e32 v6, v7, v6
	v_cmp_gt_i32_e64 s8, s15, v22
	s_waitcnt lgkmcnt(0)
	s_load_b32 s43, s[0:1], 0x200
	s_sub_i32 s19, s68, 32
	s_lshl_b32 s45, s6, 5
	v_and_or_b32 v166, v0, 4, v6
	v_mul_lo_u32 v6, s6, v13
	v_mul_lo_u32 v13, s13, v13
	s_and_b32 s71, s7, s8
	v_cmp_le_i32_e64 s7, s44, v171
	v_cmp_gt_i32_e64 s8, s15, v171
	s_lshl_b32 s68, s6, 6
	v_cmp_le_i32_e64 s11, s17, v172
	v_cmp_gt_i32_e64 s12, s16, v172
	v_cmp_gt_i32_e32 vcc_lo, s9, v41
	v_dual_mov_b32 v18, v13 :: v_dual_and_b32 v5, 0x1fc, v5
	v_cmp_gt_i32_e64 s3, s53, v14
	v_cmp_gt_i32_e64 s4, s53, v3
	v_cmp_le_i32_e64 s9, s17, v39
	s_and_b32 s7, s7, s8
	v_sub_nc_u32_e32 v5, v5, v7
	v_mul_lo_u32 v7, s6, v12
	v_mul_lo_u32 v12, s13, v12
	s_and_b32 s3, s3, s71
	s_and_b32 s4, s4, s7
	v_lshl_add_u32 v167, v4, 3, v5
	v_add_nc_u32_e32 v4, s55, v42
	s_and_b32 s7, s9, s10
	s_and_b32 s8, s11, s12
	;; [unrolled: 1-line block ×3, first 2 shown]
	v_mov_b32_e32 v19, v12
	v_cmp_gt_i32_e64 s6, s61, v4
	s_and_b32 s3, s5, s2
	s_and_b32 s4, s4, s8
	v_dual_mov_b32 v117, 0 :: v_dual_lshlrev_b32 v164, 2, v167
	v_dual_mov_b32 v139, 0 :: v_dual_lshlrev_b32 v14, 1, v6
	;; [unrolled: 1-line block ×3, first 2 shown]
	v_or_b32_e32 v5, 0x4000, v168
	v_or_b32_e32 v169, 0x2000, v168
	;; [unrolled: 1-line block ×3, first 2 shown]
	v_lshlrev_b32_e32 v165, 2, v166
	v_lshlrev_b32_e32 v15, 1, v7
	;; [unrolled: 1-line block ×3, first 2 shown]
	v_dual_mov_b32 v21, v10 :: v_dual_lshlrev_b32 v22, 1, v84
	s_waitcnt vmcnt(2)
	v_cndmask_b32_e64 v24, 0, v24, s3
	v_cndmask_b32_e64 v23, 0, v23, s3
	;; [unrolled: 1-line block ×4, first 2 shown]
	s_and_b32 s3, s6, s2
	ds_store_2addr_stride64_b32 v168, v23, v24 offset0:64 offset1:66
	ds_store_2addr_stride64_b32 v168, v25, v0 offset0:68 offset1:70
	v_cndmask_b32_e64 v26, 0, v30, s3
	v_cndmask_b32_e64 v29, 0, v29, s3
	;; [unrolled: 1-line block ×4, first 2 shown]
	s_and_b32 s3, vcc_lo, s7
	s_waitcnt vmcnt(1)
	v_cndmask_b32_e64 v0, 0, v34, s3
	v_cndmask_b32_e64 v23, 0, v33, s3
	;; [unrolled: 1-line block ×4, first 2 shown]
	s_and_b32 s3, vcc_lo, s4
	s_waitcnt vmcnt(0)
	v_cndmask_b32_e64 v31, 0, v36, s3
	v_cndmask_b32_e64 v32, 0, v35, s3
	;; [unrolled: 1-line block ×4, first 2 shown]
	ds_store_2addr_stride64_b32 v168, v27, v28 offset0:72 offset1:74
	ds_store_2addr_stride64_b32 v168, v25, v24 offset1:2
	ds_store_2addr_stride64_b32 v168, v23, v0 offset0:4 offset1:6
	ds_store_2addr_stride64_b32 v168, v32, v31 offset0:8 offset1:10
	;; [unrolled: 1-line block ×4, first 2 shown]
.LBB5_1:                                ; =>This Inner Loop Header: Depth=1
	v_mul_hi_u32 v0, s51, v21
	v_add_nc_u32_e32 v25, s62, v10
	v_mul_hi_u32 v34, s51, v20
	v_add_nc_u32_e32 v33, s62, v11
	v_mul_hi_u32 v24, s51, v19
	v_mul_hi_u32 v23, s51, v18
	v_cmp_gt_i32_e64 s3, s53, v25
	v_add_nc_u32_e32 v20, s69, v20
	v_add_nc_u32_e32 v0, v25, v0
	;; [unrolled: 1-line block ×3, first 2 shown]
	s_add_i32 s67, s67, 32
	v_add_nc_u32_e32 v21, s69, v21
	v_add_nc_u32_e32 v19, s69, v19
	v_lshrrev_b32_e32 v0, s57, v0
	s_delay_alu instid0(VALU_DEP_1) | instskip(NEXT) | instid1(VALU_DEP_1)
	v_mul_lo_u32 v26, s70, v0
	v_sub_nc_u32_e32 v1, v26, v1
	v_add_nc_u32_e32 v35, v25, v26
	s_delay_alu instid0(VALU_DEP_2) | instskip(SKIP_1) | instid1(VALU_DEP_1)
	v_add_nc_u32_e32 v26, v25, v1
	v_mul_hi_u32 v1, v0, s50
	v_add_nc_u32_e32 v1, v0, v1
	s_delay_alu instid0(VALU_DEP_1) | instskip(NEXT) | instid1(VALU_DEP_1)
	v_lshrrev_b32_e32 v36, s56, v1
	v_mul_lo_u32 v1, v36, s46
	s_delay_alu instid0(VALU_DEP_1) | instskip(SKIP_1) | instid1(VALU_DEP_2)
	v_sub_nc_u32_e32 v37, v0, v1
	v_sub_nc_u32_e32 v1, v36, v85
	;; [unrolled: 1-line block ×3, first 2 shown]
	s_delay_alu instid0(VALU_DEP_2) | instskip(NEXT) | instid1(VALU_DEP_2)
	v_mul_lo_u32 v1, v1, s52
	v_mul_lo_u32 v0, v0, s54
	s_delay_alu instid0(VALU_DEP_2) | instskip(SKIP_1) | instid1(VALU_DEP_3)
	v_add_nc_u32_e32 v39, v1, v172
	v_mul_lo_u32 v27, v1, s25
	v_add_nc_u32_e32 v38, v0, v171
	v_mul_lo_u32 v28, v0, s26
	v_mad_u64_u32 v[0:1], null, v26, s27, v[92:93]
	s_delay_alu instid0(VALU_DEP_3) | instskip(SKIP_1) | instid1(VALU_DEP_3)
	v_cmp_le_i32_e64 s4, s44, v38
	v_cmp_gt_i32_e64 s5, s15, v38
	v_add3_u32 v40, v0, v27, v28
	s_delay_alu instid0(VALU_DEP_2) | instskip(NEXT) | instid1(SALU_CYCLE_1)
	s_and_b32 s4, s4, s5
	s_and_b32 s5, s3, s4
	v_cmp_le_i32_e64 s3, s17, v39
	s_delay_alu instid0(VALU_DEP_2)
	v_lshlrev_b32_e32 v0, 1, v40
	v_cmp_gt_i32_e64 s4, s16, v39
	buffer_load_b128 v[25:28], v0, s[28:31], 0 offen
	s_and_b32 s3, s3, s4
	v_add_nc_u32_e32 v0, v33, v34
	s_and_b32 s3, s3, s5
	s_delay_alu instid0(SALU_CYCLE_1)
	s_and_b32 s3, vcc_lo, s3
	s_waitcnt vmcnt(0)
	v_cndmask_b32_e64 v32, 0, v25, s3
	v_lshrrev_b32_e32 v25, s57, v0
	v_cndmask_b32_e64 v31, 0, v26, s3
	v_cndmask_b32_e64 v29, 0, v28, s3
	;; [unrolled: 1-line block ×3, first 2 shown]
	v_cmp_gt_i32_e64 s3, s53, v33
	v_mad_u64_u32 v[0:1], null, s70, v25, v[33:34]
	v_mul_hi_u32 v1, v25, s50
	s_delay_alu instid0(VALU_DEP_2) | instskip(NEXT) | instid1(VALU_DEP_2)
	v_sub_nc_u32_e32 v28, v0, v35
	v_add_nc_u32_e32 v1, v25, v1
	s_delay_alu instid0(VALU_DEP_2) | instskip(NEXT) | instid1(VALU_DEP_2)
	v_mul_lo_u32 v28, v28, s27
	v_lshrrev_b32_e32 v1, s56, v1
	s_delay_alu instid0(VALU_DEP_1) | instskip(SKIP_1) | instid1(VALU_DEP_1)
	v_mul_lo_u32 v26, v1, s46
	v_sub_nc_u32_e32 v27, v1, v36
	v_mul_lo_u32 v36, v27, s52
	s_delay_alu instid0(VALU_DEP_3) | instskip(NEXT) | instid1(VALU_DEP_1)
	v_sub_nc_u32_e32 v25, v25, v26
	v_sub_nc_u32_e32 v26, v25, v37
	s_delay_alu instid0(VALU_DEP_3) | instskip(NEXT) | instid1(VALU_DEP_2)
	v_add_nc_u32_e32 v27, v36, v39
	v_mul_lo_u32 v34, v26, s54
	s_delay_alu instid0(VALU_DEP_1) | instskip(SKIP_2) | instid1(VALU_DEP_3)
	v_add_nc_u32_e32 v26, v34, v38
	v_mul_lo_u32 v37, v34, s26
	v_mad_u64_u32 v[34:35], null, v36, s25, v[28:29]
	v_cmp_le_i32_e64 s4, s44, v26
	v_cmp_gt_i32_e64 s5, s15, v26
	s_delay_alu instid0(VALU_DEP_3) | instskip(NEXT) | instid1(VALU_DEP_2)
	v_add3_u32 v28, v34, v40, v37
	s_and_b32 s4, s4, s5
	s_delay_alu instid0(SALU_CYCLE_1) | instskip(SKIP_1) | instid1(VALU_DEP_2)
	s_and_b32 s5, s3, s4
	v_cmp_le_i32_e64 s3, s17, v27
	v_lshlrev_b32_e32 v34, 1, v28
	v_cmp_gt_i32_e64 s4, s16, v27
	buffer_load_b128 v[36:39], v34, s[28:31], 0 offen
	s_and_b32 s3, s3, s4
	s_delay_alu instid0(SALU_CYCLE_1) | instskip(NEXT) | instid1(SALU_CYCLE_1)
	s_and_b32 s3, s3, s5
	s_and_b32 s3, vcc_lo, s3
	s_waitcnt vmcnt(0)
	v_cndmask_b32_e64 v35, 0, v37, s3
	v_add_nc_u32_e32 v37, v17, v22
	v_cndmask_b32_e64 v33, 0, v39, s3
	v_cndmask_b32_e64 v34, 0, v38, s3
	v_cndmask_b32_e64 v36, 0, v36, s3
	v_cmp_gt_i32_e64 s3, s61, v9
	buffer_load_b128 v[40:43], v37, s[36:39], 0 offen
	v_add_nc_u32_e32 v9, s45, v9
	s_and_b32 s3, s2, s3
	s_waitcnt vmcnt(0)
	v_cndmask_b32_e64 v39, 0, v41, s3
	v_add_nc_u32_e32 v41, v16, v22
	v_cndmask_b32_e64 v37, 0, v43, s3
	v_cndmask_b32_e64 v38, 0, v42, s3
	;; [unrolled: 1-line block ×3, first 2 shown]
	v_cmp_gt_i32_e64 s3, s61, v8
	buffer_load_b128 v[44:47], v41, s[36:39], 0 offen
	s_waitcnt vmcnt(0) lgkmcnt(0)
	s_barrier
	v_add_nc_u32_e32 v8, s45, v8
	s_and_b32 s3, s2, s3
	s_delay_alu instid0(SALU_CYCLE_1)
	v_cndmask_b32_e64 v41, 0, v47, s3
	v_cndmask_b32_e64 v42, 0, v46, s3
	;; [unrolled: 1-line block ×3, first 2 shown]
	ds_load_b128 v[45:48], v164
	ds_load_b128 v[49:52], v165 offset:16384
	ds_load_b128 v[53:56], v165 offset:16640
	;; [unrolled: 1-line block ×3, first 2 shown]
	v_cndmask_b32_e64 v44, 0, v44, s3
	s_waitcnt lgkmcnt(2)
	v_dot2acc_f32_f16 v163, v45, v49
	s_waitcnt lgkmcnt(1)
	v_dot2acc_f32_f16 v128, v45, v56
	v_dot2acc_f32_f16 v162, v45, v50
	;; [unrolled: 1-line block ×7, first 2 shown]
	v_dual_dot2acc_f32_f16 v124, v46, v52 :: v_dual_dot2acc_f32_f16 v155, v47, v49
	v_dot2acc_f32_f16 v154, v47, v50
	v_dot2acc_f32_f16 v122, v47, v51
	;; [unrolled: 1-line block ×4, first 2 shown]
	v_dual_dot2acc_f32_f16 v150, v48, v50 :: v_dual_dot2acc_f32_f16 v161, v45, v53
	v_dot2acc_f32_f16 v116, v48, v51
	v_dual_dot2acc_f32_f16 v115, v48, v52 :: v_dual_dot2acc_f32_f16 v156, v46, v54
	v_dot2acc_f32_f16 v160, v45, v54
	v_dual_dot2acc_f32_f16 v129, v45, v55 :: v_dual_dot2acc_f32_f16 v152, v47, v54
	v_dual_dot2acc_f32_f16 v157, v46, v53 :: v_dual_dot2acc_f32_f16 v120, v47, v56
	;; [unrolled: 1-line block ×4, first 2 shown]
	s_waitcnt lgkmcnt(0)
	v_dual_dot2acc_f32_f16 v121, v47, v55 :: v_dual_dot2acc_f32_f16 v146, v57, v50
	v_dual_dot2acc_f32_f16 v149, v48, v53 :: v_dual_dot2acc_f32_f16 v100, v57, v51
	v_dual_dot2acc_f32_f16 v118, v48, v55 :: v_dual_dot2acc_f32_f16 v147, v57, v49
	v_dual_dot2acc_f32_f16 v119, v48, v56 :: v_dual_dot2acc_f32_f16 v142, v58, v50
	ds_load_b128 v[45:48], v164 offset:512
	v_dual_dot2acc_f32_f16 v101, v57, v52 :: v_dual_dot2acc_f32_f16 v136, v59, v49
	v_dual_dot2acc_f32_f16 v143, v58, v49 :: v_dual_dot2acc_f32_f16 v108, v59, v52
	v_dual_dot2acc_f32_f16 v107, v58, v51 :: v_dual_dot2acc_f32_f16 v130, v60, v49
	v_dual_dot2acc_f32_f16 v106, v58, v52 :: v_dual_dot2acc_f32_f16 v135, v59, v50
	v_dual_dot2acc_f32_f16 v109, v59, v51 :: v_dual_dot2acc_f32_f16 v144, v57, v54
	v_dual_dot2acc_f32_f16 v137, v60, v50 :: v_dual_dot2acc_f32_f16 v102, v57, v55
	v_dual_dot2acc_f32_f16 v114, v60, v51 :: v_dual_dot2acc_f32_f16 v145, v57, v53
	v_dual_dot2acc_f32_f16 v117, v60, v52 :: v_dual_dot2acc_f32_f16 v140, v58, v54
	ds_load_b128 v[49:52], v165 offset:16896
	v_dual_dot2acc_f32_f16 v103, v57, v56 :: v_dual_dot2acc_f32_f16 v132, v59, v53
	v_dual_dot2acc_f32_f16 v141, v58, v53 :: v_dual_dot2acc_f32_f16 v110, v59, v56
	v_dual_dot2acc_f32_f16 v105, v58, v55 :: v_dual_dot2acc_f32_f16 v138, v60, v53
	v_dual_dot2acc_f32_f16 v104, v58, v56 :: v_dual_dot2acc_f32_f16 v131, v59, v54
	v_dot2acc_f32_f16 v111, v59, v55
	v_dot2acc_f32_f16 v139, v60, v54
	v_dot2acc_f32_f16 v112, v60, v55
	v_dot2acc_f32_f16 v113, v60, v56
	ds_load_b128 v[53:56], v165 offset:17152
	ds_load_b128 v[57:60], v164 offset:768
	s_waitcnt lgkmcnt(2)
	v_dual_dot2acc_f32_f16 v158, v46, v50 :: v_dual_dot2acc_f32_f16 v163, v45, v49
	v_dot2acc_f32_f16 v162, v45, v50
	v_dot2acc_f32_f16 v134, v45, v51
	v_dual_dot2acc_f32_f16 v133, v45, v52 :: v_dual_dot2acc_f32_f16 v154, v47, v50
	v_dual_dot2acc_f32_f16 v159, v46, v49 :: v_dual_dot2acc_f32_f16 v122, v47, v51
	v_dual_dot2acc_f32_f16 v125, v46, v51 :: v_dual_dot2acc_f32_f16 v150, v48, v50
	v_dual_dot2acc_f32_f16 v124, v46, v52 :: v_dual_dot2acc_f32_f16 v155, v47, v49
	v_dual_dot2acc_f32_f16 v123, v47, v52 :: v_dual_dot2acc_f32_f16 v116, v48, v51
	s_waitcnt lgkmcnt(1)
	v_dual_dot2acc_f32_f16 v151, v48, v49 :: v_dual_dot2acc_f32_f16 v160, v45, v54
	v_dual_dot2acc_f32_f16 v115, v48, v52 :: v_dual_dot2acc_f32_f16 v156, v46, v54
	v_dual_dot2acc_f32_f16 v161, v45, v53 :: v_dual_dot2acc_f32_f16 v126, v46, v55
	v_dual_dot2acc_f32_f16 v129, v45, v55 :: v_dual_dot2acc_f32_f16 v152, v47, v54
	v_dual_dot2acc_f32_f16 v128, v45, v56 :: v_dual_dot2acc_f32_f16 v157, v46, v53
	v_dual_dot2acc_f32_f16 v127, v46, v56 :: v_dual_dot2acc_f32_f16 v148, v48, v54
	v_dual_dot2acc_f32_f16 v153, v47, v53 :: v_dual_dot2acc_f32_f16 v118, v48, v55
	s_waitcnt lgkmcnt(0)
	v_dual_dot2acc_f32_f16 v121, v47, v55 :: v_dual_dot2acc_f32_f16 v146, v57, v50
	v_dual_dot2acc_f32_f16 v120, v47, v56 :: v_dual_dot2acc_f32_f16 v149, v48, v53
	v_dual_dot2acc_f32_f16 v119, v48, v56 :: v_dual_dot2acc_f32_f16 v100, v57, v51
	ds_load_b128 v[45:48], v164 offset:1024
	v_dual_dot2acc_f32_f16 v147, v57, v49 :: v_dual_dot2acc_f32_f16 v142, v58, v50
	v_dual_dot2acc_f32_f16 v101, v57, v52 :: v_dual_dot2acc_f32_f16 v136, v59, v49
	v_dual_dot2acc_f32_f16 v143, v58, v49 :: v_dual_dot2acc_f32_f16 v108, v59, v52
	v_dual_dot2acc_f32_f16 v107, v58, v51 :: v_dual_dot2acc_f32_f16 v130, v60, v49
	v_dual_dot2acc_f32_f16 v106, v58, v52 :: v_dual_dot2acc_f32_f16 v135, v59, v50
	v_dual_dot2acc_f32_f16 v109, v59, v51 :: v_dual_dot2acc_f32_f16 v144, v57, v54
	v_dual_dot2acc_f32_f16 v137, v60, v50 :: v_dual_dot2acc_f32_f16 v102, v57, v55
	v_dual_dot2acc_f32_f16 v114, v60, v51 :: v_dual_dot2acc_f32_f16 v145, v57, v53
	v_dual_dot2acc_f32_f16 v117, v60, v52 :: v_dual_dot2acc_f32_f16 v140, v58, v54
	ds_load_b128 v[49:52], v165 offset:17408
	v_dual_dot2acc_f32_f16 v103, v57, v56 :: v_dual_dot2acc_f32_f16 v132, v59, v53
	v_dual_dot2acc_f32_f16 v141, v58, v53 :: v_dual_dot2acc_f32_f16 v110, v59, v56
	v_dual_dot2acc_f32_f16 v105, v58, v55 :: v_dual_dot2acc_f32_f16 v138, v60, v53
	v_dual_dot2acc_f32_f16 v104, v58, v56 :: v_dual_dot2acc_f32_f16 v131, v59, v54
	v_dot2acc_f32_f16 v111, v59, v55
	v_dot2acc_f32_f16 v139, v60, v54
	v_dot2acc_f32_f16 v112, v60, v55
	v_dot2acc_f32_f16 v113, v60, v56
	ds_load_b128 v[53:56], v165 offset:17664
	ds_load_b128 v[57:60], v164 offset:1280
	s_waitcnt lgkmcnt(2)
	v_dual_dot2acc_f32_f16 v158, v46, v50 :: v_dual_dot2acc_f32_f16 v163, v45, v49
	v_dot2acc_f32_f16 v162, v45, v50
	v_dot2acc_f32_f16 v134, v45, v51
	v_dual_dot2acc_f32_f16 v133, v45, v52 :: v_dual_dot2acc_f32_f16 v154, v47, v50
	v_dual_dot2acc_f32_f16 v159, v46, v49 :: v_dual_dot2acc_f32_f16 v122, v47, v51
	v_dual_dot2acc_f32_f16 v125, v46, v51 :: v_dual_dot2acc_f32_f16 v150, v48, v50
	v_dual_dot2acc_f32_f16 v124, v46, v52 :: v_dual_dot2acc_f32_f16 v155, v47, v49
	v_dual_dot2acc_f32_f16 v123, v47, v52 :: v_dual_dot2acc_f32_f16 v116, v48, v51
	s_waitcnt lgkmcnt(1)
	v_dual_dot2acc_f32_f16 v151, v48, v49 :: v_dual_dot2acc_f32_f16 v160, v45, v54
	v_dual_dot2acc_f32_f16 v115, v48, v52 :: v_dual_dot2acc_f32_f16 v156, v46, v54
	v_dual_dot2acc_f32_f16 v161, v45, v53 :: v_dual_dot2acc_f32_f16 v126, v46, v55
	v_dual_dot2acc_f32_f16 v129, v45, v55 :: v_dual_dot2acc_f32_f16 v152, v47, v54
	v_dual_dot2acc_f32_f16 v128, v45, v56 :: v_dual_dot2acc_f32_f16 v157, v46, v53
	v_dual_dot2acc_f32_f16 v127, v46, v56 :: v_dual_dot2acc_f32_f16 v148, v48, v54
	v_dual_dot2acc_f32_f16 v153, v47, v53 :: v_dual_dot2acc_f32_f16 v118, v48, v55
	s_waitcnt lgkmcnt(0)
	v_dual_dot2acc_f32_f16 v121, v47, v55 :: v_dual_dot2acc_f32_f16 v146, v57, v50
	v_dual_dot2acc_f32_f16 v120, v47, v56 :: v_dual_dot2acc_f32_f16 v149, v48, v53
	v_dual_dot2acc_f32_f16 v119, v48, v56 :: v_dual_dot2acc_f32_f16 v100, v57, v51
	ds_load_b128 v[45:48], v164 offset:1536
	v_dual_dot2acc_f32_f16 v147, v57, v49 :: v_dual_dot2acc_f32_f16 v142, v58, v50
	;; [unrolled: 42-line block ×14, first 2 shown]
	v_dual_dot2acc_f32_f16 v101, v57, v52 :: v_dual_dot2acc_f32_f16 v136, v59, v49
	v_dual_dot2acc_f32_f16 v143, v58, v49 :: v_dual_dot2acc_f32_f16 v108, v59, v52
	;; [unrolled: 1-line block ×8, first 2 shown]
	ds_load_b128 v[49:52], v165 offset:24064
	v_dual_dot2acc_f32_f16 v103, v57, v56 :: v_dual_dot2acc_f32_f16 v132, v59, v53
	v_dual_dot2acc_f32_f16 v141, v58, v53 :: v_dual_dot2acc_f32_f16 v110, v59, v56
	;; [unrolled: 1-line block ×4, first 2 shown]
	v_dot2acc_f32_f16 v111, v59, v55
	v_dot2acc_f32_f16 v139, v60, v54
	;; [unrolled: 1-line block ×4, first 2 shown]
	ds_load_b128 v[53:56], v165 offset:24320
	ds_load_b128 v[57:60], v164 offset:7936
	ds_store_2addr_stride64_b32 v168, v32, v31 offset0:32 offset1:34
	ds_store_2addr_stride64_b32 v168, v30, v29 offset0:36 offset1:38
	ds_store_b32 v169, v36 offset:2048
	ds_store_2addr_stride64_b32 v168, v35, v34 offset0:42 offset1:44
	ds_store_2addr_stride64_b32 v168, v33, v40 offset0:46 offset1:96
	;; [unrolled: 1-line block ×3, first 2 shown]
	ds_store_b32 v170, v44 offset:2048
	ds_store_2addr_stride64_b32 v168, v37, v43 offset0:102 offset1:106
	ds_store_2addr_stride64_b32 v168, v42, v41 offset0:108 offset1:110
	s_waitcnt lgkmcnt(11)
	v_dual_dot2acc_f32_f16 v158, v46, v50 :: v_dual_add_nc_u32 v29, s62, v12
	v_dot2acc_f32_f16 v163, v45, v49
	v_dot2acc_f32_f16 v162, v45, v50
	s_delay_alu instid0(VALU_DEP_3) | instskip(SKIP_2) | instid1(VALU_DEP_3)
	v_add_nc_u32_e32 v24, v29, v24
	v_dual_dot2acc_f32_f16 v133, v45, v52 :: v_dual_dot2acc_f32_f16 v154, v47, v50
	v_dual_dot2acc_f32_f16 v125, v46, v51 :: v_dual_dot2acc_f32_f16 v150, v48, v50
	v_lshrrev_b32_e32 v24, s57, v24
	v_dot2acc_f32_f16 v134, v45, v51
	v_cmp_gt_i32_e64 s3, s53, v29
	v_dual_dot2acc_f32_f16 v159, v46, v49 :: v_dual_dot2acc_f32_f16 v122, v47, v51
	s_waitcnt lgkmcnt(9)
	v_dot2acc_f32_f16 v112, v60, v55
	v_dot2acc_f32_f16 v111, v59, v55
	v_mad_u64_u32 v[33:34], null, s70, v24, v[29:30]
	v_mul_hi_u32 v30, v24, s50
	v_dot2acc_f32_f16 v113, v60, v56
	v_dual_dot2acc_f32_f16 v124, v46, v52 :: v_dual_dot2acc_f32_f16 v155, v47, v49
	v_dual_dot2acc_f32_f16 v123, v47, v52 :: v_dual_dot2acc_f32_f16 v116, v48, v51
	v_sub_nc_u32_e32 v0, v33, v0
	v_dual_dot2acc_f32_f16 v115, v48, v52 :: v_dual_dot2acc_f32_f16 v156, v46, v54
	v_dual_dot2acc_f32_f16 v127, v46, v56 :: v_dual_add_nc_u32 v30, v24, v30
	v_dot2acc_f32_f16 v148, v48, v54
	s_delay_alu instid0(VALU_DEP_4) | instskip(SKIP_1) | instid1(VALU_DEP_4)
	v_mul_lo_u32 v0, v0, s27
	v_dual_dot2acc_f32_f16 v151, v48, v49 :: v_dual_dot2acc_f32_f16 v160, v45, v54
	v_lshrrev_b32_e32 v34, s56, v30
	v_dual_dot2acc_f32_f16 v161, v45, v53 :: v_dual_dot2acc_f32_f16 v126, v46, v55
	v_dual_dot2acc_f32_f16 v129, v45, v55 :: v_dual_dot2acc_f32_f16 v152, v47, v54
	s_delay_alu instid0(VALU_DEP_3) | instskip(SKIP_3) | instid1(VALU_DEP_3)
	v_mul_lo_u32 v30, v34, s46
	v_sub_nc_u32_e32 v1, v34, v1
	v_dual_dot2acc_f32_f16 v128, v45, v56 :: v_dual_dot2acc_f32_f16 v157, v46, v53
	v_dual_dot2acc_f32_f16 v153, v47, v53 :: v_dual_dot2acc_f32_f16 v118, v48, v55
	v_mul_lo_u32 v1, v1, s52
	v_dual_dot2acc_f32_f16 v121, v47, v55 :: v_dual_dot2acc_f32_f16 v146, v57, v50
	v_sub_nc_u32_e32 v35, v24, v30
	v_dual_dot2acc_f32_f16 v120, v47, v56 :: v_dual_dot2acc_f32_f16 v149, v48, v53
	v_dual_dot2acc_f32_f16 v119, v48, v56 :: v_dual_dot2acc_f32_f16 v100, v57, v51
	s_delay_alu instid0(VALU_DEP_3) | instskip(SKIP_3) | instid1(VALU_DEP_4)
	v_sub_nc_u32_e32 v24, v35, v25
	v_add_nc_u32_e32 v37, v1, v27
	v_dual_dot2acc_f32_f16 v147, v57, v49 :: v_dual_dot2acc_f32_f16 v142, v58, v50
	v_dual_dot2acc_f32_f16 v101, v57, v52 :: v_dual_dot2acc_f32_f16 v136, v59, v49
	v_mul_lo_u32 v24, v24, s54
	v_dual_dot2acc_f32_f16 v143, v58, v49 :: v_dual_dot2acc_f32_f16 v108, v59, v52
	v_dual_dot2acc_f32_f16 v107, v58, v51 :: v_dual_dot2acc_f32_f16 v130, v60, v49
	v_dual_dot2acc_f32_f16 v106, v58, v52 :: v_dual_dot2acc_f32_f16 v135, v59, v50
	v_dual_dot2acc_f32_f16 v109, v59, v51 :: v_dual_dot2acc_f32_f16 v144, v57, v54
	v_add_nc_u32_e32 v36, v24, v26
	v_mul_lo_u32 v26, v24, s26
	v_mad_u64_u32 v[24:25], null, v1, s25, v[0:1]
	v_dual_dot2acc_f32_f16 v137, v60, v50 :: v_dual_dot2acc_f32_f16 v102, v57, v55
	s_delay_alu instid0(VALU_DEP_4) | instskip(SKIP_4) | instid1(VALU_DEP_4)
	v_cmp_le_i32_e64 s4, s44, v36
	v_cmp_gt_i32_e64 s5, s15, v36
	v_dual_dot2acc_f32_f16 v114, v60, v51 :: v_dual_dot2acc_f32_f16 v145, v57, v53
	v_add3_u32 v25, v24, v26, v28
	v_dot2acc_f32_f16 v139, v60, v54
	s_and_b32 s4, s4, s5
	v_dual_dot2acc_f32_f16 v117, v60, v52 :: v_dual_dot2acc_f32_f16 v140, v58, v54
	s_delay_alu instid0(VALU_DEP_3)
	v_lshlrev_b32_e32 v0, 1, v25
	s_and_b32 s5, s3, s4
	v_cmp_le_i32_e64 s3, s17, v37
	v_cmp_gt_i32_e64 s4, s16, v37
	v_dual_dot2acc_f32_f16 v103, v57, v56 :: v_dual_dot2acc_f32_f16 v132, v59, v53
	buffer_load_b128 v[29:32], v0, s[28:31], 0 offen
	v_dual_dot2acc_f32_f16 v141, v58, v53 :: v_dual_dot2acc_f32_f16 v110, v59, v56
	s_and_b32 s3, s3, s4
	v_dual_dot2acc_f32_f16 v105, v58, v55 :: v_dual_dot2acc_f32_f16 v138, v60, v53
	s_and_b32 s3, s3, s5
	v_dual_dot2acc_f32_f16 v104, v58, v56 :: v_dual_dot2acc_f32_f16 v131, v59, v54
	s_and_b32 s3, vcc_lo, s3
	s_waitcnt vmcnt(0)
	v_cndmask_b32_e64 v28, 0, v30, s3
	v_add_nc_u32_e32 v30, s62, v13
	v_cndmask_b32_e64 v26, 0, v32, s3
	v_cndmask_b32_e64 v27, 0, v31, s3
	;; [unrolled: 1-line block ×3, first 2 shown]
	s_add_i32 s3, s18, s65
	v_add_nc_u32_e32 v0, v30, v23
	v_add3_u32 v3, s3, s3, v3
	v_cmp_gt_i32_e64 s3, s53, v30
	s_add_i32 s62, s62, s69
	s_delay_alu instid0(VALU_DEP_3) | instskip(NEXT) | instid1(VALU_DEP_1)
	v_lshrrev_b32_e32 v0, s57, v0
	v_mul_hi_u32 v24, v0, s50
	v_mul_lo_u32 v87, s70, v0
	v_mul_lo_u32 v1, v0, s47
	s_delay_alu instid0(VALU_DEP_3) | instskip(NEXT) | instid1(VALU_DEP_3)
	v_add_nc_u32_e32 v24, v0, v24
	v_add_nc_u32_e32 v23, v30, v87
	s_delay_alu instid0(VALU_DEP_3) | instskip(NEXT) | instid1(VALU_DEP_3)
	v_sub_nc_u32_e32 v1, v3, v1
	v_lshrrev_b32_e32 v85, s56, v24
	s_delay_alu instid0(VALU_DEP_3) | instskip(NEXT) | instid1(VALU_DEP_2)
	v_sub_nc_u32_e32 v23, v23, v33
	v_mul_lo_u32 v24, v85, s46
	s_delay_alu instid0(VALU_DEP_1) | instskip(SKIP_1) | instid1(VALU_DEP_2)
	v_sub_nc_u32_e32 v86, v0, v24
	v_sub_nc_u32_e32 v24, v85, v34
	v_sub_nc_u32_e32 v0, v86, v35
	s_delay_alu instid0(VALU_DEP_2) | instskip(NEXT) | instid1(VALU_DEP_2)
	v_mul_lo_u32 v31, v24, s52
	v_mul_lo_u32 v0, v0, s54
	s_delay_alu instid0(VALU_DEP_2) | instskip(NEXT) | instid1(VALU_DEP_2)
	v_add_nc_u32_e32 v172, v31, v37
	v_add_nc_u32_e32 v171, v0, v36
	v_mul_lo_u32 v32, v0, s26
	v_mul_lo_u32 v0, v23, s27
	s_delay_alu instid0(VALU_DEP_3) | instskip(SKIP_1) | instid1(VALU_DEP_3)
	v_cmp_le_i32_e64 s4, s44, v171
	v_cmp_gt_i32_e64 s5, s15, v171
	v_mad_u64_u32 v[23:24], null, v31, s25, v[0:1]
	s_delay_alu instid0(VALU_DEP_2) | instskip(NEXT) | instid1(SALU_CYCLE_1)
	s_and_b32 s4, s4, s5
	s_and_b32 s5, s3, s4
	v_cmp_le_i32_e64 s3, s17, v172
	v_cmp_gt_i32_e64 s4, s16, v172
	s_delay_alu instid0(VALU_DEP_3) | instskip(NEXT) | instid1(VALU_DEP_2)
	v_add3_u32 v92, v23, v32, v25
	s_and_b32 s3, s3, s4
	s_delay_alu instid0(VALU_DEP_1) | instskip(SKIP_1) | instid1(SALU_CYCLE_1)
	v_lshlrev_b32_e32 v0, 1, v92
	s_and_b32 s3, s3, s5
	s_and_b32 s3, vcc_lo, s3
	buffer_load_b128 v[33:36], v0, s[28:31], 0 offen
	v_add_nc_u32_e32 v0, v15, v22
	s_waitcnt vmcnt(0)
	v_cndmask_b32_e64 v30, 0, v36, s3
	v_cndmask_b32_e64 v31, 0, v35, s3
	v_cndmask_b32_e64 v32, 0, v34, s3
	buffer_load_b128 v[34:37], v0, s[36:39], 0 offen
	v_cndmask_b32_e64 v33, 0, v33, s3
	v_cmp_gt_i32_e64 s3, s61, v7
	v_add_nc_u32_e32 v7, s45, v7
	s_delay_alu instid0(VALU_DEP_2)
	s_and_b32 s3, s2, s3
	s_waitcnt vmcnt(0)
	v_cndmask_b32_e64 v25, 0, v34, s3
	v_add_nc_u32_e32 v34, v14, v22
	v_cndmask_b32_e64 v0, 0, v37, s3
	v_cndmask_b32_e64 v23, 0, v36, s3
	;; [unrolled: 1-line block ×3, first 2 shown]
	s_add_i32 s3, s55, s66
	buffer_load_b128 v[37:40], v34, s[36:39], 0 offen
	v_add3_u32 v4, s3, s3, v4
	v_cmp_gt_i32_e64 s3, s61, v6
	s_waitcnt vmcnt(0) lgkmcnt(0)
	s_barrier
	v_add_nc_u32_e32 v6, s45, v6
	v_add_nc_u32_e32 v22, s68, v22
	s_and_b32 s3, s2, s3
	s_cmp_lt_i32 s67, s19
	v_cndmask_b32_e64 v34, 0, v40, s3
	v_cndmask_b32_e64 v35, 0, v39, s3
	;; [unrolled: 1-line block ×3, first 2 shown]
	ds_load_b128 v[38:41], v164 offset:8192
	ds_load_b128 v[42:45], v165 offset:24576
	ds_load_b128 v[46:49], v165 offset:24832
	ds_load_b128 v[50:53], v164 offset:8448
	v_cndmask_b32_e64 v37, 0, v37, s3
	s_waitcnt lgkmcnt(2)
	v_dot2acc_f32_f16 v163, v38, v42
	s_waitcnt lgkmcnt(1)
	v_dual_dot2acc_f32_f16 v127, v39, v49 :: v_dual_dot2acc_f32_f16 v162, v38, v43
	v_dot2acc_f32_f16 v134, v38, v44
	v_dot2acc_f32_f16 v133, v38, v45
	;; [unrolled: 1-line block ×3, first 2 shown]
	v_dual_dot2acc_f32_f16 v158, v39, v43 :: v_dual_dot2acc_f32_f16 v151, v41, v42
	v_dot2acc_f32_f16 v125, v39, v44
	v_dual_dot2acc_f32_f16 v124, v39, v45 :: v_dual_dot2acc_f32_f16 v155, v40, v42
	v_dual_dot2acc_f32_f16 v154, v40, v43 :: v_dual_dot2acc_f32_f16 v161, v38, v46
	;; [unrolled: 1-line block ×4, first 2 shown]
	v_dot2acc_f32_f16 v129, v38, v48
	v_dual_dot2acc_f32_f16 v116, v41, v44 :: v_dual_dot2acc_f32_f16 v153, v40, v46
	v_dual_dot2acc_f32_f16 v115, v41, v45 :: v_dual_dot2acc_f32_f16 v160, v38, v47
	;; [unrolled: 1-line block ×5, first 2 shown]
	s_waitcnt lgkmcnt(0)
	v_dual_dot2acc_f32_f16 v147, v50, v42 :: v_dual_dot2acc_f32_f16 v152, v40, v47
	v_dot2acc_f32_f16 v101, v50, v45
	v_dual_dot2acc_f32_f16 v120, v40, v49 :: v_dual_dot2acc_f32_f16 v143, v51, v42
	v_dual_dot2acc_f32_f16 v148, v41, v47 :: v_dual_dot2acc_f32_f16 v107, v51, v44
	v_dual_dot2acc_f32_f16 v118, v41, v48 :: v_dual_dot2acc_f32_f16 v135, v52, v43
	ds_load_b128 v[38:41], v164 offset:8704
	v_dual_dot2acc_f32_f16 v146, v50, v43 :: v_dual_dot2acc_f32_f16 v109, v52, v44
	v_dual_dot2acc_f32_f16 v100, v50, v44 :: v_dual_dot2acc_f32_f16 v137, v53, v43
	v_dual_dot2acc_f32_f16 v142, v51, v43 :: v_dual_dot2acc_f32_f16 v117, v53, v45
	v_dual_dot2acc_f32_f16 v106, v51, v45 :: v_dual_dot2acc_f32_f16 v145, v50, v46
	v_dual_dot2acc_f32_f16 v136, v52, v42 :: v_dual_dot2acc_f32_f16 v103, v50, v49
	v_dual_dot2acc_f32_f16 v108, v52, v45 :: v_dual_dot2acc_f32_f16 v141, v51, v46
	v_dual_dot2acc_f32_f16 v130, v53, v42 :: v_dual_dot2acc_f32_f16 v105, v51, v48
	v_dual_dot2acc_f32_f16 v114, v53, v44 :: v_dual_dot2acc_f32_f16 v131, v52, v47
	ds_load_b128 v[42:45], v165 offset:25088
	v_dual_dot2acc_f32_f16 v144, v50, v47 :: v_dual_dot2acc_f32_f16 v111, v52, v48
	v_dual_dot2acc_f32_f16 v102, v50, v48 :: v_dual_dot2acc_f32_f16 v139, v53, v47
	v_dual_dot2acc_f32_f16 v140, v51, v47 :: v_dual_dot2acc_f32_f16 v113, v53, v49
	v_dot2acc_f32_f16 v104, v51, v49
	v_dot2acc_f32_f16 v132, v52, v46
	v_dot2acc_f32_f16 v110, v52, v49
	v_dot2acc_f32_f16 v138, v53, v46
	v_dot2acc_f32_f16 v112, v53, v48
	ds_load_b128 v[46:49], v165 offset:25344
	ds_load_b128 v[50:53], v164 offset:8960
	s_waitcnt lgkmcnt(2)
	v_dot2acc_f32_f16 v155, v40, v42
	v_dot2acc_f32_f16 v163, v38, v42
	v_dual_dot2acc_f32_f16 v162, v38, v43 :: v_dual_dot2acc_f32_f16 v123, v40, v45
	v_dual_dot2acc_f32_f16 v134, v38, v44 :: v_dual_dot2acc_f32_f16 v151, v41, v42
	v_dot2acc_f32_f16 v133, v38, v45
	v_dot2acc_f32_f16 v159, v39, v42
	v_dual_dot2acc_f32_f16 v158, v39, v43 :: v_dual_dot2acc_f32_f16 v115, v41, v45
	v_dot2acc_f32_f16 v125, v39, v44
	s_waitcnt lgkmcnt(1)
	v_dual_dot2acc_f32_f16 v124, v39, v45 :: v_dual_dot2acc_f32_f16 v161, v38, v46
	v_dual_dot2acc_f32_f16 v154, v40, v43 :: v_dual_dot2acc_f32_f16 v129, v38, v48
	v_dual_dot2acc_f32_f16 v122, v40, v44 :: v_dual_dot2acc_f32_f16 v157, v39, v46
	v_dual_dot2acc_f32_f16 v150, v41, v43 :: v_dual_dot2acc_f32_f16 v127, v39, v49
	v_dual_dot2acc_f32_f16 v116, v41, v44 :: v_dual_dot2acc_f32_f16 v153, v40, v46
	v_dual_dot2acc_f32_f16 v160, v38, v47 :: v_dual_dot2acc_f32_f16 v121, v40, v48
	v_dual_dot2acc_f32_f16 v128, v38, v49 :: v_dual_dot2acc_f32_f16 v149, v41, v46
	v_dual_dot2acc_f32_f16 v156, v39, v47 :: v_dual_dot2acc_f32_f16 v119, v41, v49
	s_waitcnt lgkmcnt(0)
	v_dual_dot2acc_f32_f16 v126, v39, v48 :: v_dual_dot2acc_f32_f16 v147, v50, v42
	v_dual_dot2acc_f32_f16 v152, v40, v47 :: v_dual_dot2acc_f32_f16 v101, v50, v45
	v_dual_dot2acc_f32_f16 v120, v40, v49 :: v_dual_dot2acc_f32_f16 v143, v51, v42
	v_dual_dot2acc_f32_f16 v148, v41, v47 :: v_dual_dot2acc_f32_f16 v107, v51, v44
	v_dual_dot2acc_f32_f16 v118, v41, v48 :: v_dual_dot2acc_f32_f16 v135, v52, v43
	ds_load_b128 v[38:41], v164 offset:9216
	v_dual_dot2acc_f32_f16 v146, v50, v43 :: v_dual_dot2acc_f32_f16 v109, v52, v44
	v_dual_dot2acc_f32_f16 v100, v50, v44 :: v_dual_dot2acc_f32_f16 v137, v53, v43
	v_dual_dot2acc_f32_f16 v142, v51, v43 :: v_dual_dot2acc_f32_f16 v117, v53, v45
	v_dual_dot2acc_f32_f16 v106, v51, v45 :: v_dual_dot2acc_f32_f16 v145, v50, v46
	v_dual_dot2acc_f32_f16 v136, v52, v42 :: v_dual_dot2acc_f32_f16 v103, v50, v49
	v_dual_dot2acc_f32_f16 v108, v52, v45 :: v_dual_dot2acc_f32_f16 v141, v51, v46
	v_dual_dot2acc_f32_f16 v130, v53, v42 :: v_dual_dot2acc_f32_f16 v105, v51, v48
	v_dual_dot2acc_f32_f16 v114, v53, v44 :: v_dual_dot2acc_f32_f16 v131, v52, v47
	ds_load_b128 v[42:45], v165 offset:25600
	v_dual_dot2acc_f32_f16 v144, v50, v47 :: v_dual_dot2acc_f32_f16 v111, v52, v48
	v_dual_dot2acc_f32_f16 v102, v50, v48 :: v_dual_dot2acc_f32_f16 v139, v53, v47
	v_dual_dot2acc_f32_f16 v140, v51, v47 :: v_dual_dot2acc_f32_f16 v113, v53, v49
	v_dot2acc_f32_f16 v104, v51, v49
	v_dot2acc_f32_f16 v132, v52, v46
	v_dot2acc_f32_f16 v110, v52, v49
	v_dot2acc_f32_f16 v138, v53, v46
	v_dot2acc_f32_f16 v112, v53, v48
	ds_load_b128 v[46:49], v165 offset:25856
	ds_load_b128 v[50:53], v164 offset:9472
	s_waitcnt lgkmcnt(2)
	v_dot2acc_f32_f16 v155, v40, v42
	v_dot2acc_f32_f16 v163, v38, v42
	v_dual_dot2acc_f32_f16 v162, v38, v43 :: v_dual_dot2acc_f32_f16 v123, v40, v45
	v_dual_dot2acc_f32_f16 v134, v38, v44 :: v_dual_dot2acc_f32_f16 v151, v41, v42
	v_dot2acc_f32_f16 v133, v38, v45
	v_dot2acc_f32_f16 v159, v39, v42
	v_dual_dot2acc_f32_f16 v158, v39, v43 :: v_dual_dot2acc_f32_f16 v115, v41, v45
	v_dot2acc_f32_f16 v125, v39, v44
	s_waitcnt lgkmcnt(1)
	v_dual_dot2acc_f32_f16 v124, v39, v45 :: v_dual_dot2acc_f32_f16 v161, v38, v46
	v_dual_dot2acc_f32_f16 v154, v40, v43 :: v_dual_dot2acc_f32_f16 v129, v38, v48
	v_dual_dot2acc_f32_f16 v122, v40, v44 :: v_dual_dot2acc_f32_f16 v157, v39, v46
	v_dual_dot2acc_f32_f16 v150, v41, v43 :: v_dual_dot2acc_f32_f16 v127, v39, v49
	v_dual_dot2acc_f32_f16 v116, v41, v44 :: v_dual_dot2acc_f32_f16 v153, v40, v46
	v_dual_dot2acc_f32_f16 v160, v38, v47 :: v_dual_dot2acc_f32_f16 v121, v40, v48
	v_dual_dot2acc_f32_f16 v128, v38, v49 :: v_dual_dot2acc_f32_f16 v149, v41, v46
	v_dual_dot2acc_f32_f16 v156, v39, v47 :: v_dual_dot2acc_f32_f16 v119, v41, v49
	s_waitcnt lgkmcnt(0)
	v_dual_dot2acc_f32_f16 v126, v39, v48 :: v_dual_dot2acc_f32_f16 v147, v50, v42
	v_dual_dot2acc_f32_f16 v152, v40, v47 :: v_dual_dot2acc_f32_f16 v101, v50, v45
	;; [unrolled: 44-line block ×14, first 2 shown]
	v_dual_dot2acc_f32_f16 v120, v40, v49 :: v_dual_dot2acc_f32_f16 v143, v51, v42
	v_dual_dot2acc_f32_f16 v148, v41, v47 :: v_dual_dot2acc_f32_f16 v107, v51, v44
	;; [unrolled: 1-line block ×3, first 2 shown]
	ds_load_b128 v[38:41], v164 offset:15872
	v_dual_dot2acc_f32_f16 v146, v50, v43 :: v_dual_dot2acc_f32_f16 v109, v52, v44
	v_dual_dot2acc_f32_f16 v100, v50, v44 :: v_dual_dot2acc_f32_f16 v137, v53, v43
	;; [unrolled: 1-line block ×8, first 2 shown]
	ds_load_b128 v[42:45], v165 offset:32256
	v_dual_dot2acc_f32_f16 v144, v50, v47 :: v_dual_dot2acc_f32_f16 v111, v52, v48
	v_dual_dot2acc_f32_f16 v102, v50, v48 :: v_dual_dot2acc_f32_f16 v139, v53, v47
	;; [unrolled: 1-line block ×3, first 2 shown]
	v_dot2acc_f32_f16 v104, v51, v49
	v_dot2acc_f32_f16 v132, v52, v46
	v_dot2acc_f32_f16 v110, v52, v49
	v_dot2acc_f32_f16 v138, v53, v46
	v_dot2acc_f32_f16 v112, v53, v48
	ds_load_b128 v[46:49], v165 offset:32512
	ds_load_b128 v[50:53], v164 offset:16128
	ds_store_2addr_stride64_b32 v168, v29, v28 offset1:2
	ds_store_2addr_stride64_b32 v168, v27, v26 offset0:4 offset1:6
	ds_store_2addr_stride64_b32 v168, v33, v32 offset0:8 offset1:10
	;; [unrolled: 1-line block ×5, first 2 shown]
	ds_store_b32 v5, v37 offset:2048
	ds_store_2addr_stride64_b32 v168, v36, v35 offset0:74 offset1:76
	ds_store_b32 v168, v34 offset:19968
	s_waitcnt lgkmcnt(11)
	v_dot2acc_f32_f16 v155, v40, v42
	v_dot2acc_f32_f16 v163, v38, v42
	v_dual_dot2acc_f32_f16 v162, v38, v43 :: v_dual_dot2acc_f32_f16 v123, v40, v45
	v_dual_dot2acc_f32_f16 v134, v38, v44 :: v_dual_dot2acc_f32_f16 v151, v41, v42
	v_dot2acc_f32_f16 v133, v38, v45
	v_dot2acc_f32_f16 v159, v39, v42
	v_dual_dot2acc_f32_f16 v158, v39, v43 :: v_dual_dot2acc_f32_f16 v115, v41, v45
	v_dot2acc_f32_f16 v125, v39, v44
	s_waitcnt lgkmcnt(10)
	v_dual_dot2acc_f32_f16 v124, v39, v45 :: v_dual_dot2acc_f32_f16 v161, v38, v46
	v_dual_dot2acc_f32_f16 v154, v40, v43 :: v_dual_dot2acc_f32_f16 v129, v38, v48
	;; [unrolled: 1-line block ×8, first 2 shown]
	s_waitcnt lgkmcnt(9)
	v_dual_dot2acc_f32_f16 v126, v39, v48 :: v_dual_dot2acc_f32_f16 v147, v50, v42
	v_dual_dot2acc_f32_f16 v152, v40, v47 :: v_dual_dot2acc_f32_f16 v101, v50, v45
	v_dual_dot2acc_f32_f16 v120, v40, v49 :: v_dual_dot2acc_f32_f16 v143, v51, v42
	v_dual_dot2acc_f32_f16 v148, v41, v47 :: v_dual_dot2acc_f32_f16 v107, v51, v44
	v_dual_dot2acc_f32_f16 v118, v41, v48 :: v_dual_dot2acc_f32_f16 v135, v52, v43
	v_dual_dot2acc_f32_f16 v146, v50, v43 :: v_dual_dot2acc_f32_f16 v109, v52, v44
	v_dual_dot2acc_f32_f16 v100, v50, v44 :: v_dual_dot2acc_f32_f16 v137, v53, v43
	v_dual_dot2acc_f32_f16 v142, v51, v43 :: v_dual_dot2acc_f32_f16 v117, v53, v45
	v_dual_dot2acc_f32_f16 v106, v51, v45 :: v_dual_dot2acc_f32_f16 v145, v50, v46
	v_dual_dot2acc_f32_f16 v136, v52, v42 :: v_dual_dot2acc_f32_f16 v103, v50, v49
	v_dual_dot2acc_f32_f16 v108, v52, v45 :: v_dual_dot2acc_f32_f16 v141, v51, v46
	v_dual_dot2acc_f32_f16 v130, v53, v42 :: v_dual_dot2acc_f32_f16 v105, v51, v48
	v_dual_dot2acc_f32_f16 v114, v53, v44 :: v_dual_dot2acc_f32_f16 v131, v52, v47
	v_dual_dot2acc_f32_f16 v144, v50, v47 :: v_dual_dot2acc_f32_f16 v111, v52, v48
	v_dual_dot2acc_f32_f16 v102, v50, v48 :: v_dual_dot2acc_f32_f16 v139, v53, v47
	v_dual_dot2acc_f32_f16 v140, v51, v47 :: v_dual_dot2acc_f32_f16 v113, v53, v49
	v_dot2acc_f32_f16 v104, v51, v49
	v_dot2acc_f32_f16 v132, v52, v46
	;; [unrolled: 1-line block ×5, first 2 shown]
	s_cbranch_scc1 .LBB5_1
; %bb.2:
	s_waitcnt lgkmcnt(0)
	s_barrier
	ds_load_b128 v[72:75], v165 offset:16384
	ds_load_b128 v[64:67], v165 offset:16640
	ds_load_b128 v[76:79], v164
	v_add_nc_u32_e32 v0, 4, v2
	v_add_nc_u32_e32 v89, s66, v4
	s_load_b64 s[4:5], s[0:1], 0x10
	s_lshl_b64 s[0:1], s[22:23], 1
	s_mul_i32 s7, s20, s64
	s_add_u32 s12, s48, s0
	s_mul_hi_u32 s8, s20, s63
	s_mul_i32 s3, s21, s63
	s_mul_i32 s6, s20, s63
	s_mov_b32 s23, 0x31004000
	s_waitcnt lgkmcnt(0)
	v_dot2acc_f32_f16 v162, v76, v73
	v_dot2acc_f32_f16 v163, v76, v72
	v_mul_lo_u32 v88, s13, v0
	v_dual_dot2acc_f32_f16 v154, v78, v73 :: v_dual_add_nc_u32 v95, v89, v84
	s_addc_u32 s13, s49, s1
	v_cmp_gt_i32_e64 s1, s61, v89
	v_dual_dot2acc_f32_f16 v124, v77, v75 :: v_dual_add_nc_u32 v89, s55, v89
	s_add_i32 s0, s8, s7
	s_delay_alu instid0(VALU_DEP_4)
	v_add3_u32 v93, s65, s62, v88
	v_dot2acc_f32_f16 v134, v76, v74
	v_add3_u32 v88, v88, v87, s62
	s_add_i32 s7, s0, s3
	v_cmp_gt_i32_e64 s3, s61, v89
	v_mul_hi_u32 v20, v93, s51
	v_add_nc_u32_e32 v173, s18, v93
	v_dual_dot2acc_f32_f16 v125, v77, v74 :: v_dual_lshlrev_b32 v98, 1, v95
	v_dot2acc_f32_f16 v133, v76, v75
	ds_load_b128 v[68:71], v164 offset:256
	ds_load_b128 v[0:3], v165 offset:16896
	;; [unrolled: 1-line block ×6, first 2 shown]
	v_mul_hi_u32 v36, v173, s51
	v_cmp_gt_i32_e64 s0, s53, v93
	v_dual_dot2acc_f32_f16 v123, v78, v75 :: v_dual_add_nc_u32 v32, v93, v20
	ds_load_b128 v[20:23], v165 offset:17664
	ds_load_b128 v[28:31], v164 offset:1024
	;; [unrolled: 1-line block ×3, first 2 shown]
	v_dual_dot2acc_f32_f16 v118, v79, v66 :: v_dual_dot2acc_f32_f16 v155, v78, v72
	v_dot2acc_f32_f16 v150, v79, v73
	v_lshrrev_b32_e32 v90, s57, v32
	v_add_nc_u32_e32 v94, v173, v36
	ds_load_b128 v[32:35], v165 offset:17920
	ds_load_b128 v[52:55], v165 offset:18176
	;; [unrolled: 1-line block ×9, first 2 shown]
	v_mul_hi_u32 v91, v90, s50
	v_lshrrev_b32_e32 v96, s57, v94
	v_mul_lo_u32 v84, v90, s47
	s_waitcnt lgkmcnt(17)
	v_dual_dot2acc_f32_f16 v158, v77, v73 :: v_dual_dot2acc_f32_f16 v101, v68, v75
	s_waitcnt lgkmcnt(14)
	v_dot2acc_f32_f16 v118, v15, v6
	v_mul_hi_u32 v94, v96, s50
	v_dual_dot2acc_f32_f16 v122, v78, v74 :: v_dual_dot2acc_f32_f16 v151, v79, v72
	v_add_nc_u32_e32 v91, v90, v91
	v_sub_nc_u32_e32 v84, v93, v84
	v_dot2acc_f32_f16 v159, v77, v72
	s_waitcnt lgkmcnt(10)
	v_dual_dot2acc_f32_f16 v101, v8, v3 :: v_dual_dot2acc_f32_f16 v118, v31, v22
	v_lshrrev_b32_e32 v91, s56, v91
	v_add_nc_u32_e32 v94, v96, v94
	v_dual_dot2acc_f32_f16 v120, v78, v67 :: v_dual_dot2acc_f32_f16 v147, v68, v72
	v_dual_dot2acc_f32_f16 v119, v79, v67 :: v_dual_dot2acc_f32_f16 v146, v68, v73
	s_delay_alu instid0(VALU_DEP_4) | instskip(NEXT) | instid1(VALU_DEP_4)
	v_mul_lo_u32 v97, v91, s46
	v_lshrrev_b32_e32 v99, s56, v94
	v_sub_nc_u32_e32 v85, v91, v85
	v_dual_dot2acc_f32_f16 v100, v68, v74 :: v_dual_dot2acc_f32_f16 v143, v69, v72
	v_dual_dot2acc_f32_f16 v142, v69, v73 :: v_dual_dot2acc_f32_f16 v109, v70, v74
	s_delay_alu instid0(VALU_DEP_3) | instskip(SKIP_4) | instid1(VALU_DEP_4)
	v_mul_lo_u32 v175, v85, s52
	v_sub_nc_u32_e32 v87, v90, v97
	v_sub_nc_u32_e32 v90, v84, v88
	v_add_lshl_u32 v97, v95, s55, 1
	v_mad_u64_u32 v[94:95], null, v96, s47, v[84:85]
	v_mad_u64_u32 v[88:89], null, v99, s46, v[87:88]
	v_sub_nc_u32_e32 v84, v87, v86
	v_sub_nc_u32_e32 v99, v99, v91
	v_mul_lo_u32 v95, v90, s27
	v_dual_dot2acc_f32_f16 v107, v69, v74 :: v_dual_dot2acc_f32_f16 v136, v70, v72
	s_delay_alu instid0(VALU_DEP_4)
	v_mul_lo_u32 v174, v84, s54
	v_sub_nc_u32_e32 v96, v96, v88
	v_mul_lo_u32 v177, v99, s52
	v_sub_nc_u32_e32 v94, v173, v94
	s_clause 0x1
	buffer_load_b128 v[88:91], v98, s[36:39], 0 offen
	buffer_load_b128 v[84:87], v97, s[36:39], 0 offen
	v_dual_dot2acc_f32_f16 v106, v69, v75 :: v_dual_dot2acc_f32_f16 v135, v70, v73
	v_mul_lo_u32 v176, v96, s54
	v_mad_u64_u32 v[96:97], null, v175, s25, v[95:96]
	v_mul_lo_u32 v95, v174, s26
	v_mul_lo_u32 v93, v94, s27
	;; [unrolled: 1-line block ×3, first 2 shown]
	v_dual_dot2acc_f32_f16 v108, v70, v75 :: v_dual_dot2acc_f32_f16 v137, v71, v73
	v_mul_lo_u32 v97, v176, s26
	v_dot2acc_f32_f16 v115, v79, v75
	v_dual_dot2acc_f32_f16 v130, v71, v72 :: v_dual_dot2acc_f32_f16 v103, v68, v67
	v_add3_u32 v92, v96, v95, v92
	s_waitcnt lgkmcnt(6)
	v_dual_dot2acc_f32_f16 v101, v24, v19 :: v_dual_dot2acc_f32_f16 v118, v63, v54
	v_dual_dot2acc_f32_f16 v116, v79, v74 :: v_dual_dot2acc_f32_f16 v161, v76, v64
	v_add3_u32 v93, v94, v93, v97
	v_lshlrev_b32_e32 v94, 1, v92
	v_dual_dot2acc_f32_f16 v160, v76, v65 :: v_dual_dot2acc_f32_f16 v157, v77, v64
	v_dual_dot2acc_f32_f16 v129, v76, v66 :: v_dual_dot2acc_f32_f16 v156, v77, v65
	s_delay_alu instid0(VALU_DEP_4)
	v_add_lshl_u32 v96, v93, v92, 1
	buffer_load_b128 v[92:95], v94, s[28:31], 0 offen
	v_dual_dot2acc_f32_f16 v128, v76, v67 :: v_dual_dot2acc_f32_f16 v153, v78, v64
	v_dual_dot2acc_f32_f16 v126, v77, v66 :: v_dual_dot2acc_f32_f16 v149, v79, v64
	buffer_load_b128 v[96:99], v96, s[28:31], 0 offen
	v_dual_dot2acc_f32_f16 v127, v77, v67 :: v_dual_dot2acc_f32_f16 v152, v78, v65
	v_dual_dot2acc_f32_f16 v121, v78, v66 :: v_dual_dot2acc_f32_f16 v148, v79, v65
	;; [unrolled: 1-line block ×25, first 2 shown]
	s_waitcnt lgkmcnt(2)
	v_dual_dot2acc_f32_f16 v101, v56, v35 :: v_dual_dot2acc_f32_f16 v118, v83, v38
	v_add_nc_u32_e32 v1, v174, v171
	v_add_nc_u32_e32 v0, v175, v172
	s_lshl_b64 s[6:7], s[6:7], 1
	s_waitcnt lgkmcnt(1)
	v_dual_dot2acc_f32_f16 v101, v44, v43 :: v_dual_dot2acc_f32_f16 v122, v14, v2
	v_dot2acc_f32_f16 v115, v15, v3
	v_dual_dot2acc_f32_f16 v116, v15, v2 :: v_dual_dot2acc_f32_f16 v161, v12, v4
	v_dual_dot2acc_f32_f16 v160, v12, v5 :: v_dual_dot2acc_f32_f16 v157, v13, v4
	;; [unrolled: 1-line block ×17, first 2 shown]
	s_add_u32 s20, s4, s6
	s_addc_u32 s21, s5, s7
	v_add_nc_u32_e32 v2, v177, v0
	v_cmp_le_i32_e64 s4, s17, v0
	v_cmp_gt_i32_e64 s5, s16, v0
	v_add_nc_u32_e32 v0, v176, v1
	v_dual_dot2acc_f32_f16 v134, v28, v18 :: v_dual_dot2acc_f32_f16 v159, v29, v16
	v_dual_dot2acc_f32_f16 v158, v29, v17 :: v_dual_dot2acc_f32_f16 v155, v30, v16
	;; [unrolled: 1-line block ×31, first 2 shown]
	ds_load_b128 v[16:19], v165 offset:18944
	ds_load_b128 v[20:23], v165 offset:19200
	ds_load_b128 v[24:27], v164 offset:2816
	ds_load_b128 v[28:31], v164 offset:3072
	v_cmp_le_i32_e64 s6, s17, v2
	v_cmp_gt_i32_e64 s7, s16, v2
	v_cmp_le_i32_e64 s8, s44, v1
	v_cmp_gt_i32_e64 s9, s15, v1
	;; [unrolled: 2-line block ×3, first 2 shown]
	s_and_b32 s1, s2, s1
	s_and_b32 s2, s2, s3
	v_cmp_gt_i32_e64 s3, s53, v173
	s_and_b32 s4, s4, s5
	s_and_b32 s5, s6, s7
	;; [unrolled: 1-line block ×6, first 2 shown]
	v_dual_dot2acc_f32_f16 v134, v60, v34 :: v_dual_dot2acc_f32_f16 v159, v61, v32
	v_dual_dot2acc_f32_f16 v158, v61, v33 :: v_dual_dot2acc_f32_f16 v155, v62, v32
	;; [unrolled: 1-line block ×31, first 2 shown]
	s_and_b32 s0, s4, s0
	s_and_b32 s3, s5, s3
	s_and_b32 s0, vcc_lo, s0
	s_and_b32 vcc_lo, vcc_lo, s3
	v_dual_dot2acc_f32_f16 v134, v80, v42 :: v_dual_dot2acc_f32_f16 v159, v81, v40
	v_dual_dot2acc_f32_f16 v158, v81, v41 :: v_dual_dot2acc_f32_f16 v155, v82, v40
	v_dual_dot2acc_f32_f16 v125, v81, v42 :: v_dual_dot2acc_f32_f16 v154, v82, v41
	v_dual_dot2acc_f32_f16 v124, v81, v43 :: v_dual_dot2acc_f32_f16 v151, v83, v40
	v_dual_dot2acc_f32_f16 v122, v82, v42 :: v_dual_dot2acc_f32_f16 v115, v83, v43
	v_dual_dot2acc_f32_f16 v123, v82, v43 :: v_dual_dot2acc_f32_f16 v150, v83, v41
	v_dual_dot2acc_f32_f16 v116, v83, v42 :: v_dual_dot2acc_f32_f16 v161, v80, v36
	v_dual_dot2acc_f32_f16 v160, v80, v37 :: v_dual_dot2acc_f32_f16 v157, v81, v36
	v_dual_dot2acc_f32_f16 v129, v80, v38 :: v_dual_dot2acc_f32_f16 v156, v81, v37
	v_dual_dot2acc_f32_f16 v128, v80, v39 :: v_dual_dot2acc_f32_f16 v153, v82, v36
	v_dual_dot2acc_f32_f16 v126, v81, v38 :: v_dual_dot2acc_f32_f16 v149, v83, v36
	v_dual_dot2acc_f32_f16 v127, v81, v39 :: v_dual_dot2acc_f32_f16 v152, v82, v37
	v_dual_dot2acc_f32_f16 v121, v82, v38 :: v_dual_dot2acc_f32_f16 v148, v83, v37
	v_dual_dot2acc_f32_f16 v120, v82, v39 :: v_dual_dot2acc_f32_f16 v147, v44, v40
	v_dual_dot2acc_f32_f16 v119, v83, v39 :: v_dual_dot2acc_f32_f16 v146, v44, v41
	v_dot2acc_f32_f16 v100, v44, v42
	v_dual_dot2acc_f32_f16 v142, v45, v41 :: v_dual_dot2acc_f32_f16 v109, v46, v42
	v_dual_dot2acc_f32_f16 v107, v45, v42 :: v_dual_dot2acc_f32_f16 v136, v46, v40
	;; [unrolled: 1-line block ×12, first 2 shown]
	s_waitcnt lgkmcnt(3)
	v_dual_dot2acc_f32_f16 v138, v47, v36 :: v_dual_dot2acc_f32_f16 v133, v48, v19
	v_dual_dot2acc_f32_f16 v112, v47, v38 :: v_dual_dot2acc_f32_f16 v163, v48, v16
	;; [unrolled: 1-line block ×4, first 2 shown]
	v_dot2acc_f32_f16 v143, v45, v40
	v_dual_dot2acc_f32_f16 v158, v49, v17 :: v_dual_dot2acc_f32_f16 v155, v50, v16
	v_dual_dot2acc_f32_f16 v125, v49, v18 :: v_dual_dot2acc_f32_f16 v154, v50, v17
	;; [unrolled: 1-line block ×5, first 2 shown]
	s_waitcnt vmcnt(0)
	v_dual_cndmask_b32 v10, 0, v99 :: v_dual_cndmask_b32 v15, 0, v97
	s_waitcnt lgkmcnt(2)
	v_dual_dot2acc_f32_f16 v116, v51, v18 :: v_dual_dot2acc_f32_f16 v161, v48, v20
	v_dual_dot2acc_f32_f16 v160, v48, v21 :: v_dual_dot2acc_f32_f16 v157, v49, v20
	v_dual_dot2acc_f32_f16 v129, v48, v22 :: v_dual_dot2acc_f32_f16 v156, v49, v21
	v_dual_dot2acc_f32_f16 v128, v48, v23 :: v_dual_dot2acc_f32_f16 v153, v50, v20
	v_dual_dot2acc_f32_f16 v126, v49, v22 :: v_dual_dot2acc_f32_f16 v149, v51, v20
	v_dual_dot2acc_f32_f16 v127, v49, v23 :: v_dual_dot2acc_f32_f16 v152, v50, v21
	v_dual_dot2acc_f32_f16 v121, v50, v22 :: v_dual_dot2acc_f32_f16 v148, v51, v21
	s_waitcnt lgkmcnt(1)
	v_dual_dot2acc_f32_f16 v120, v50, v23 :: v_dual_dot2acc_f32_f16 v147, v24, v16
	v_dual_dot2acc_f32_f16 v118, v51, v22 :: v_dual_dot2acc_f32_f16 v101, v24, v19
	v_dual_dot2acc_f32_f16 v119, v51, v23 :: v_dual_dot2acc_f32_f16 v146, v24, v17
	v_dual_dot2acc_f32_f16 v100, v24, v18 :: v_dual_dot2acc_f32_f16 v143, v25, v16
	v_dual_dot2acc_f32_f16 v142, v25, v17 :: v_dual_dot2acc_f32_f16 v109, v26, v18
	v_dual_dot2acc_f32_f16 v107, v25, v18 :: v_dual_dot2acc_f32_f16 v136, v26, v16
	v_dual_dot2acc_f32_f16 v106, v25, v19 :: v_dual_dot2acc_f32_f16 v135, v26, v17
	v_dual_dot2acc_f32_f16 v108, v26, v19 :: v_dual_dot2acc_f32_f16 v137, v27, v17
	v_dual_dot2acc_f32_f16 v130, v27, v16 :: v_dual_dot2acc_f32_f16 v103, v24, v23
	v_dual_dot2acc_f32_f16 v114, v27, v18 :: v_dual_dot2acc_f32_f16 v145, v24, v20
	ds_load_b128 v[32:35], v165 offset:19456
	v_dual_dot2acc_f32_f16 v117, v27, v19 :: v_dual_dot2acc_f32_f16 v144, v24, v21
	v_dual_dot2acc_f32_f16 v102, v24, v22 :: v_dual_dot2acc_f32_f16 v141, v25, v20
	v_dual_dot2acc_f32_f16 v140, v25, v21 :: v_dual_dot2acc_f32_f16 v111, v26, v22
	v_dual_dot2acc_f32_f16 v105, v25, v22 :: v_dual_dot2acc_f32_f16 v132, v26, v20
	v_dual_dot2acc_f32_f16 v104, v25, v23 :: v_dual_dot2acc_f32_f16 v131, v26, v21
	v_dual_dot2acc_f32_f16 v110, v26, v23 :: v_dual_dot2acc_f32_f16 v139, v27, v21
	ds_load_b128 v[16:19], v165 offset:19712
	v_dot2acc_f32_f16 v138, v27, v20
	v_dot2acc_f32_f16 v112, v27, v22
	v_dot2acc_f32_f16 v113, v27, v23
	ds_load_b128 v[20:23], v164 offset:3328
	ds_load_b128 v[24:27], v164 offset:3584
	v_cndmask_b32_e64 v12, 0, v93, s0
	s_waitcnt lgkmcnt(3)
	v_dot2acc_f32_f16 v163, v28, v32
	v_dot2acc_f32_f16 v162, v28, v33
	v_dual_dot2acc_f32_f16 v134, v28, v34 :: v_dual_dot2acc_f32_f16 v159, v29, v32
	v_dual_dot2acc_f32_f16 v133, v28, v35 :: v_dual_dot2acc_f32_f16 v158, v29, v33
	v_dot2acc_f32_f16 v155, v30, v32
	v_dual_dot2acc_f32_f16 v125, v29, v34 :: v_dual_dot2acc_f32_f16 v154, v30, v33
	v_dual_dot2acc_f32_f16 v124, v29, v35 :: v_dual_dot2acc_f32_f16 v151, v31, v32
	v_dual_dot2acc_f32_f16 v122, v30, v34 :: v_dual_dot2acc_f32_f16 v115, v31, v35
	v_dual_dot2acc_f32_f16 v123, v30, v35 :: v_dual_dot2acc_f32_f16 v150, v31, v33
	s_waitcnt lgkmcnt(2)
	v_dual_dot2acc_f32_f16 v116, v31, v34 :: v_dual_dot2acc_f32_f16 v161, v28, v16
	v_dual_dot2acc_f32_f16 v160, v28, v17 :: v_dual_dot2acc_f32_f16 v157, v29, v16
	v_dual_dot2acc_f32_f16 v129, v28, v18 :: v_dual_dot2acc_f32_f16 v156, v29, v17
	v_dual_dot2acc_f32_f16 v128, v28, v19 :: v_dual_dot2acc_f32_f16 v153, v30, v16
	v_dual_dot2acc_f32_f16 v126, v29, v18 :: v_dual_dot2acc_f32_f16 v149, v31, v16
	v_dual_dot2acc_f32_f16 v127, v29, v19 :: v_dual_dot2acc_f32_f16 v152, v30, v17
	v_dual_dot2acc_f32_f16 v121, v30, v18 :: v_dual_dot2acc_f32_f16 v148, v31, v17
	s_waitcnt lgkmcnt(1)
	v_dual_dot2acc_f32_f16 v120, v30, v19 :: v_dual_dot2acc_f32_f16 v147, v20, v32
	v_dual_dot2acc_f32_f16 v118, v31, v18 :: v_dual_dot2acc_f32_f16 v101, v20, v35
	v_dual_dot2acc_f32_f16 v119, v31, v19 :: v_dual_dot2acc_f32_f16 v146, v20, v33
	v_dual_dot2acc_f32_f16 v100, v20, v34 :: v_dual_dot2acc_f32_f16 v143, v21, v32
	v_dual_dot2acc_f32_f16 v142, v21, v33 :: v_dual_dot2acc_f32_f16 v109, v22, v34
	v_dual_dot2acc_f32_f16 v107, v21, v34 :: v_dual_dot2acc_f32_f16 v136, v22, v32
	v_dual_dot2acc_f32_f16 v106, v21, v35 :: v_dual_dot2acc_f32_f16 v135, v22, v33
	v_dual_dot2acc_f32_f16 v108, v22, v35 :: v_dual_dot2acc_f32_f16 v137, v23, v33
	v_dual_dot2acc_f32_f16 v130, v23, v32 :: v_dual_dot2acc_f32_f16 v103, v20, v19
	v_dual_dot2acc_f32_f16 v114, v23, v34 :: v_dual_dot2acc_f32_f16 v145, v20, v16
	ds_load_b128 v[28:31], v165 offset:19968
	v_dual_dot2acc_f32_f16 v117, v23, v35 :: v_dual_dot2acc_f32_f16 v144, v20, v17
	v_dual_dot2acc_f32_f16 v102, v20, v18 :: v_dual_dot2acc_f32_f16 v141, v21, v16
	v_dual_dot2acc_f32_f16 v140, v21, v17 :: v_dual_dot2acc_f32_f16 v111, v22, v18
	v_dual_dot2acc_f32_f16 v105, v21, v18 :: v_dual_dot2acc_f32_f16 v132, v22, v16
	v_dual_dot2acc_f32_f16 v104, v21, v19 :: v_dual_dot2acc_f32_f16 v131, v22, v17
	v_dual_dot2acc_f32_f16 v110, v22, v19 :: v_dual_dot2acc_f32_f16 v139, v23, v17
	ds_load_b128 v[32:35], v165 offset:20224
	v_dot2acc_f32_f16 v138, v23, v16
	v_dot2acc_f32_f16 v112, v23, v18
	v_dot2acc_f32_f16 v113, v23, v19
	ds_load_b128 v[16:19], v164 offset:3840
	ds_load_b128 v[20:23], v164 offset:4096
	v_cndmask_b32_e64 v14, 0, v92, s0
	s_waitcnt lgkmcnt(3)
	v_dot2acc_f32_f16 v163, v24, v28
	v_dot2acc_f32_f16 v162, v24, v29
	v_dual_dot2acc_f32_f16 v134, v24, v30 :: v_dual_dot2acc_f32_f16 v159, v25, v28
	v_dual_dot2acc_f32_f16 v133, v24, v31 :: v_dual_dot2acc_f32_f16 v158, v25, v29
	v_dot2acc_f32_f16 v155, v26, v28
	v_dual_dot2acc_f32_f16 v125, v25, v30 :: v_dual_dot2acc_f32_f16 v154, v26, v29
	v_dual_dot2acc_f32_f16 v124, v25, v31 :: v_dual_dot2acc_f32_f16 v151, v27, v28
	v_dual_dot2acc_f32_f16 v122, v26, v30 :: v_dual_dot2acc_f32_f16 v115, v27, v31
	v_dual_dot2acc_f32_f16 v123, v26, v31 :: v_dual_dot2acc_f32_f16 v150, v27, v29
	s_waitcnt lgkmcnt(2)
	v_dual_dot2acc_f32_f16 v116, v27, v30 :: v_dual_dot2acc_f32_f16 v161, v24, v32
	v_dual_dot2acc_f32_f16 v160, v24, v33 :: v_dual_dot2acc_f32_f16 v157, v25, v32
	v_dual_dot2acc_f32_f16 v129, v24, v34 :: v_dual_dot2acc_f32_f16 v156, v25, v33
	v_dual_dot2acc_f32_f16 v128, v24, v35 :: v_dual_dot2acc_f32_f16 v153, v26, v32
	v_dual_dot2acc_f32_f16 v126, v25, v34 :: v_dual_dot2acc_f32_f16 v149, v27, v32
	v_dual_dot2acc_f32_f16 v127, v25, v35 :: v_dual_dot2acc_f32_f16 v152, v26, v33
	v_dual_dot2acc_f32_f16 v121, v26, v34 :: v_dual_dot2acc_f32_f16 v148, v27, v33
	s_waitcnt lgkmcnt(1)
	v_dual_dot2acc_f32_f16 v120, v26, v35 :: v_dual_dot2acc_f32_f16 v147, v16, v28
	v_dual_dot2acc_f32_f16 v118, v27, v34 :: v_dual_dot2acc_f32_f16 v101, v16, v31
	v_dual_dot2acc_f32_f16 v119, v27, v35 :: v_dual_dot2acc_f32_f16 v146, v16, v29
	v_dual_dot2acc_f32_f16 v100, v16, v30 :: v_dual_dot2acc_f32_f16 v143, v17, v28
	v_dual_dot2acc_f32_f16 v142, v17, v29 :: v_dual_dot2acc_f32_f16 v109, v18, v30
	v_dual_dot2acc_f32_f16 v107, v17, v30 :: v_dual_dot2acc_f32_f16 v136, v18, v28
	v_dual_dot2acc_f32_f16 v106, v17, v31 :: v_dual_dot2acc_f32_f16 v135, v18, v29
	v_dual_dot2acc_f32_f16 v108, v18, v31 :: v_dual_dot2acc_f32_f16 v137, v19, v29
	v_dual_dot2acc_f32_f16 v130, v19, v28 :: v_dual_dot2acc_f32_f16 v103, v16, v35
	v_dual_dot2acc_f32_f16 v114, v19, v30 :: v_dual_dot2acc_f32_f16 v145, v16, v32
	ds_load_b128 v[24:27], v165 offset:20480
	v_dual_dot2acc_f32_f16 v117, v19, v31 :: v_dual_dot2acc_f32_f16 v144, v16, v33
	v_dual_dot2acc_f32_f16 v102, v16, v34 :: v_dual_dot2acc_f32_f16 v141, v17, v32
	v_dual_dot2acc_f32_f16 v140, v17, v33 :: v_dual_dot2acc_f32_f16 v111, v18, v34
	v_dual_dot2acc_f32_f16 v105, v17, v34 :: v_dual_dot2acc_f32_f16 v132, v18, v32
	v_dual_dot2acc_f32_f16 v104, v17, v35 :: v_dual_dot2acc_f32_f16 v131, v18, v33
	v_dual_dot2acc_f32_f16 v110, v18, v35 :: v_dual_dot2acc_f32_f16 v139, v19, v33
	ds_load_b128 v[28:31], v165 offset:20736
	v_dot2acc_f32_f16 v138, v19, v32
	v_dot2acc_f32_f16 v112, v19, v34
	v_dot2acc_f32_f16 v113, v19, v35
	ds_load_b128 v[16:19], v164 offset:4352
	ds_load_b128 v[32:35], v165 offset:20992
	v_cndmask_b32_e64 v8, 0, v95, s0
	s_waitcnt lgkmcnt(3)
	v_dot2acc_f32_f16 v163, v20, v24
	v_dot2acc_f32_f16 v162, v20, v25
	v_dual_dot2acc_f32_f16 v134, v20, v26 :: v_dual_dot2acc_f32_f16 v159, v21, v24
	v_dual_dot2acc_f32_f16 v133, v20, v27 :: v_dual_dot2acc_f32_f16 v158, v21, v25
	v_dot2acc_f32_f16 v155, v22, v24
	v_dual_dot2acc_f32_f16 v125, v21, v26 :: v_dual_dot2acc_f32_f16 v154, v22, v25
	v_dual_dot2acc_f32_f16 v124, v21, v27 :: v_dual_dot2acc_f32_f16 v151, v23, v24
	v_dual_dot2acc_f32_f16 v122, v22, v26 :: v_dual_dot2acc_f32_f16 v115, v23, v27
	v_dual_dot2acc_f32_f16 v123, v22, v27 :: v_dual_dot2acc_f32_f16 v150, v23, v25
	s_waitcnt lgkmcnt(2)
	v_dual_dot2acc_f32_f16 v116, v23, v26 :: v_dual_dot2acc_f32_f16 v161, v20, v28
	v_dual_dot2acc_f32_f16 v160, v20, v29 :: v_dual_dot2acc_f32_f16 v157, v21, v28
	;; [unrolled: 1-line block ×7, first 2 shown]
	v_dot2acc_f32_f16 v120, v22, v31
	v_dot2acc_f32_f16 v118, v23, v30
	;; [unrolled: 1-line block ×3, first 2 shown]
	ds_load_b128 v[20:23], v164 offset:4608
	s_waitcnt lgkmcnt(2)
	v_dot2acc_f32_f16 v146, v16, v25
	v_dot2acc_f32_f16 v147, v16, v24
	v_dual_dot2acc_f32_f16 v100, v16, v26 :: v_dual_dot2acc_f32_f16 v143, v17, v24
	v_dual_dot2acc_f32_f16 v101, v16, v27 :: v_dual_dot2acc_f32_f16 v142, v17, v25
	v_dot2acc_f32_f16 v109, v18, v26
	v_dual_dot2acc_f32_f16 v107, v17, v26 :: v_dual_dot2acc_f32_f16 v136, v18, v24
	v_dual_dot2acc_f32_f16 v106, v17, v27 :: v_dual_dot2acc_f32_f16 v135, v18, v25
	;; [unrolled: 1-line block ×11, first 2 shown]
	ds_load_b128 v[24:27], v165 offset:21248
	s_waitcnt lgkmcnt(1)
	v_dual_dot2acc_f32_f16 v138, v19, v28 :: v_dual_dot2acc_f32_f16 v133, v20, v35
	v_dual_dot2acc_f32_f16 v112, v19, v30 :: v_dual_dot2acc_f32_f16 v163, v20, v32
	;; [unrolled: 1-line block ×3, first 2 shown]
	ds_load_b128 v[16:19], v164 offset:4864
	v_dual_dot2acc_f32_f16 v134, v20, v34 :: v_dual_dot2acc_f32_f16 v159, v21, v32
	v_dual_dot2acc_f32_f16 v158, v21, v33 :: v_dual_dot2acc_f32_f16 v155, v22, v32
	;; [unrolled: 1-line block ×6, first 2 shown]
	s_waitcnt lgkmcnt(1)
	v_dual_dot2acc_f32_f16 v116, v23, v34 :: v_dual_dot2acc_f32_f16 v161, v20, v24
	v_dual_dot2acc_f32_f16 v160, v20, v25 :: v_dual_dot2acc_f32_f16 v157, v21, v24
	;; [unrolled: 1-line block ×7, first 2 shown]
	v_dot2acc_f32_f16 v120, v22, v27
	v_dot2acc_f32_f16 v118, v23, v26
	;; [unrolled: 1-line block ×3, first 2 shown]
	ds_load_b128 v[20:23], v164 offset:5120
	s_waitcnt lgkmcnt(1)
	v_dot2acc_f32_f16 v146, v16, v33
	v_dot2acc_f32_f16 v147, v16, v32
	v_dual_dot2acc_f32_f16 v100, v16, v34 :: v_dual_dot2acc_f32_f16 v143, v17, v32
	v_dual_dot2acc_f32_f16 v101, v16, v35 :: v_dual_dot2acc_f32_f16 v142, v17, v33
	v_dot2acc_f32_f16 v109, v18, v34
	v_dual_dot2acc_f32_f16 v107, v17, v34 :: v_dual_dot2acc_f32_f16 v136, v18, v32
	v_dual_dot2acc_f32_f16 v106, v17, v35 :: v_dual_dot2acc_f32_f16 v135, v18, v33
	v_dual_dot2acc_f32_f16 v108, v18, v35 :: v_dual_dot2acc_f32_f16 v137, v19, v33
	v_dual_dot2acc_f32_f16 v130, v19, v32 :: v_dual_dot2acc_f32_f16 v103, v16, v27
	v_dual_dot2acc_f32_f16 v114, v19, v34 :: v_dual_dot2acc_f32_f16 v145, v16, v24
	ds_load_b128 v[28:31], v165 offset:21504
	v_dual_dot2acc_f32_f16 v117, v19, v35 :: v_dual_dot2acc_f32_f16 v144, v16, v25
	v_dual_dot2acc_f32_f16 v102, v16, v26 :: v_dual_dot2acc_f32_f16 v141, v17, v24
	;; [unrolled: 1-line block ×6, first 2 shown]
	ds_load_b128 v[32:35], v165 offset:21760
	v_dot2acc_f32_f16 v138, v19, v24
	v_dot2acc_f32_f16 v112, v19, v26
	;; [unrolled: 1-line block ×3, first 2 shown]
	ds_load_b128 v[16:19], v164 offset:5376
	ds_load_b128 v[24:27], v165 offset:22016
	v_cndmask_b32_e64 v9, 0, v94, s0
	s_waitcnt lgkmcnt(3)
	v_dot2acc_f32_f16 v163, v20, v28
	v_dot2acc_f32_f16 v162, v20, v29
	v_dual_dot2acc_f32_f16 v134, v20, v30 :: v_dual_dot2acc_f32_f16 v159, v21, v28
	v_dual_dot2acc_f32_f16 v133, v20, v31 :: v_dual_dot2acc_f32_f16 v158, v21, v29
	v_dot2acc_f32_f16 v155, v22, v28
	v_dual_dot2acc_f32_f16 v125, v21, v30 :: v_dual_dot2acc_f32_f16 v154, v22, v29
	v_dual_dot2acc_f32_f16 v124, v21, v31 :: v_dual_dot2acc_f32_f16 v151, v23, v28
	;; [unrolled: 1-line block ×4, first 2 shown]
	s_waitcnt lgkmcnt(2)
	v_dual_dot2acc_f32_f16 v116, v23, v30 :: v_dual_dot2acc_f32_f16 v161, v20, v32
	v_dual_dot2acc_f32_f16 v160, v20, v33 :: v_dual_dot2acc_f32_f16 v157, v21, v32
	;; [unrolled: 1-line block ×7, first 2 shown]
	v_dot2acc_f32_f16 v120, v22, v35
	v_dot2acc_f32_f16 v118, v23, v34
	;; [unrolled: 1-line block ×3, first 2 shown]
	ds_load_b128 v[20:23], v164 offset:5632
	s_waitcnt lgkmcnt(2)
	v_dot2acc_f32_f16 v146, v16, v29
	v_dot2acc_f32_f16 v147, v16, v28
	v_dual_dot2acc_f32_f16 v100, v16, v30 :: v_dual_dot2acc_f32_f16 v143, v17, v28
	v_dual_dot2acc_f32_f16 v101, v16, v31 :: v_dual_dot2acc_f32_f16 v142, v17, v29
	v_dot2acc_f32_f16 v109, v18, v30
	v_dual_dot2acc_f32_f16 v107, v17, v30 :: v_dual_dot2acc_f32_f16 v136, v18, v28
	v_dual_dot2acc_f32_f16 v106, v17, v31 :: v_dual_dot2acc_f32_f16 v135, v18, v29
	;; [unrolled: 1-line block ×11, first 2 shown]
	ds_load_b128 v[28:31], v165 offset:22272
	s_waitcnt lgkmcnt(1)
	v_dual_dot2acc_f32_f16 v138, v19, v32 :: v_dual_dot2acc_f32_f16 v133, v20, v27
	v_dual_dot2acc_f32_f16 v112, v19, v34 :: v_dual_dot2acc_f32_f16 v163, v20, v24
	;; [unrolled: 1-line block ×3, first 2 shown]
	ds_load_b128 v[16:19], v164 offset:5888
	v_dual_dot2acc_f32_f16 v134, v20, v26 :: v_dual_dot2acc_f32_f16 v159, v21, v24
	v_dual_dot2acc_f32_f16 v158, v21, v25 :: v_dual_dot2acc_f32_f16 v155, v22, v24
	;; [unrolled: 1-line block ×6, first 2 shown]
	s_waitcnt lgkmcnt(1)
	v_dual_dot2acc_f32_f16 v116, v23, v26 :: v_dual_dot2acc_f32_f16 v161, v20, v28
	v_dual_dot2acc_f32_f16 v160, v20, v29 :: v_dual_dot2acc_f32_f16 v157, v21, v28
	;; [unrolled: 1-line block ×7, first 2 shown]
	v_dot2acc_f32_f16 v120, v22, v31
	v_dot2acc_f32_f16 v118, v23, v30
	v_dot2acc_f32_f16 v119, v23, v31
	ds_load_b128 v[20:23], v164 offset:6144
	s_waitcnt lgkmcnt(1)
	v_dot2acc_f32_f16 v146, v16, v25
	v_dot2acc_f32_f16 v147, v16, v24
	v_dual_dot2acc_f32_f16 v100, v16, v26 :: v_dual_dot2acc_f32_f16 v143, v17, v24
	v_dual_dot2acc_f32_f16 v101, v16, v27 :: v_dual_dot2acc_f32_f16 v142, v17, v25
	v_dot2acc_f32_f16 v109, v18, v26
	v_dual_dot2acc_f32_f16 v107, v17, v26 :: v_dual_dot2acc_f32_f16 v136, v18, v24
	v_dual_dot2acc_f32_f16 v106, v17, v27 :: v_dual_dot2acc_f32_f16 v135, v18, v25
	;; [unrolled: 1-line block ×5, first 2 shown]
	ds_load_b128 v[32:35], v165 offset:22528
	v_dual_dot2acc_f32_f16 v117, v19, v27 :: v_dual_dot2acc_f32_f16 v144, v16, v29
	v_dual_dot2acc_f32_f16 v102, v16, v30 :: v_dual_dot2acc_f32_f16 v141, v17, v28
	v_dual_dot2acc_f32_f16 v140, v17, v29 :: v_dual_dot2acc_f32_f16 v111, v18, v30
	v_dual_dot2acc_f32_f16 v105, v17, v30 :: v_dual_dot2acc_f32_f16 v132, v18, v28
	v_dual_dot2acc_f32_f16 v104, v17, v31 :: v_dual_dot2acc_f32_f16 v131, v18, v29
	v_dual_dot2acc_f32_f16 v110, v18, v31 :: v_dual_dot2acc_f32_f16 v139, v19, v29
	ds_load_b128 v[24:27], v165 offset:22784
	v_dot2acc_f32_f16 v138, v19, v28
	v_dot2acc_f32_f16 v112, v19, v30
	;; [unrolled: 1-line block ×3, first 2 shown]
	ds_load_b128 v[16:19], v164 offset:6400
	ds_load_b128 v[28:31], v165 offset:23040
	v_cndmask_b32_e32 v13, 0, v98, vcc_lo
	s_waitcnt lgkmcnt(3)
	v_dot2acc_f32_f16 v163, v20, v32
	v_dot2acc_f32_f16 v162, v20, v33
	v_dual_dot2acc_f32_f16 v134, v20, v34 :: v_dual_dot2acc_f32_f16 v159, v21, v32
	v_dual_dot2acc_f32_f16 v133, v20, v35 :: v_dual_dot2acc_f32_f16 v158, v21, v33
	v_dot2acc_f32_f16 v155, v22, v32
	v_dual_dot2acc_f32_f16 v125, v21, v34 :: v_dual_dot2acc_f32_f16 v154, v22, v33
	v_dual_dot2acc_f32_f16 v124, v21, v35 :: v_dual_dot2acc_f32_f16 v151, v23, v32
	;; [unrolled: 1-line block ×4, first 2 shown]
	s_waitcnt lgkmcnt(2)
	v_dual_dot2acc_f32_f16 v116, v23, v34 :: v_dual_dot2acc_f32_f16 v161, v20, v24
	v_dual_dot2acc_f32_f16 v160, v20, v25 :: v_dual_dot2acc_f32_f16 v157, v21, v24
	;; [unrolled: 1-line block ×7, first 2 shown]
	v_dot2acc_f32_f16 v120, v22, v27
	v_dot2acc_f32_f16 v118, v23, v26
	;; [unrolled: 1-line block ×3, first 2 shown]
	ds_load_b128 v[20:23], v164 offset:6656
	s_waitcnt lgkmcnt(2)
	v_dot2acc_f32_f16 v146, v16, v33
	v_dot2acc_f32_f16 v147, v16, v32
	v_dual_dot2acc_f32_f16 v100, v16, v34 :: v_dual_dot2acc_f32_f16 v143, v17, v32
	v_dual_dot2acc_f32_f16 v101, v16, v35 :: v_dual_dot2acc_f32_f16 v142, v17, v33
	v_dot2acc_f32_f16 v109, v18, v34
	v_dual_dot2acc_f32_f16 v107, v17, v34 :: v_dual_dot2acc_f32_f16 v136, v18, v32
	v_dual_dot2acc_f32_f16 v106, v17, v35 :: v_dual_dot2acc_f32_f16 v135, v18, v33
	v_dual_dot2acc_f32_f16 v108, v18, v35 :: v_dual_dot2acc_f32_f16 v137, v19, v33
	v_dual_dot2acc_f32_f16 v130, v19, v32 :: v_dual_dot2acc_f32_f16 v103, v16, v27
	v_dual_dot2acc_f32_f16 v114, v19, v34 :: v_dual_dot2acc_f32_f16 v145, v16, v24
	v_dual_dot2acc_f32_f16 v117, v19, v35 :: v_dual_dot2acc_f32_f16 v144, v16, v25
	v_dual_dot2acc_f32_f16 v102, v16, v26 :: v_dual_dot2acc_f32_f16 v141, v17, v24
	v_dual_dot2acc_f32_f16 v140, v17, v25 :: v_dual_dot2acc_f32_f16 v111, v18, v26
	v_dual_dot2acc_f32_f16 v105, v17, v26 :: v_dual_dot2acc_f32_f16 v132, v18, v24
	v_dual_dot2acc_f32_f16 v104, v17, v27 :: v_dual_dot2acc_f32_f16 v131, v18, v25
	v_dual_dot2acc_f32_f16 v110, v18, v27 :: v_dual_dot2acc_f32_f16 v139, v19, v25
	ds_load_b128 v[32:35], v165 offset:23296
	s_waitcnt lgkmcnt(1)
	v_dual_dot2acc_f32_f16 v138, v19, v24 :: v_dual_dot2acc_f32_f16 v133, v20, v31
	v_dual_dot2acc_f32_f16 v112, v19, v26 :: v_dual_dot2acc_f32_f16 v163, v20, v28
	;; [unrolled: 1-line block ×3, first 2 shown]
	ds_load_b128 v[16:19], v164 offset:6912
	v_dual_dot2acc_f32_f16 v134, v20, v30 :: v_dual_dot2acc_f32_f16 v159, v21, v28
	v_dual_dot2acc_f32_f16 v158, v21, v29 :: v_dual_dot2acc_f32_f16 v155, v22, v28
	v_dual_dot2acc_f32_f16 v125, v21, v30 :: v_dual_dot2acc_f32_f16 v154, v22, v29
	v_dual_dot2acc_f32_f16 v124, v21, v31 :: v_dual_dot2acc_f32_f16 v151, v23, v28
	v_dual_dot2acc_f32_f16 v122, v22, v30 :: v_dual_dot2acc_f32_f16 v115, v23, v31
	v_dual_dot2acc_f32_f16 v123, v22, v31 :: v_dual_dot2acc_f32_f16 v150, v23, v29
	s_waitcnt lgkmcnt(1)
	v_dual_dot2acc_f32_f16 v116, v23, v30 :: v_dual_dot2acc_f32_f16 v161, v20, v32
	v_dual_dot2acc_f32_f16 v160, v20, v33 :: v_dual_dot2acc_f32_f16 v157, v21, v32
	;; [unrolled: 1-line block ×7, first 2 shown]
	v_dot2acc_f32_f16 v120, v22, v35
	v_dot2acc_f32_f16 v118, v23, v34
	;; [unrolled: 1-line block ×3, first 2 shown]
	ds_load_b128 v[20:23], v164 offset:7168
	s_waitcnt lgkmcnt(1)
	v_dot2acc_f32_f16 v146, v16, v29
	v_dot2acc_f32_f16 v147, v16, v28
	v_dual_dot2acc_f32_f16 v100, v16, v30 :: v_dual_dot2acc_f32_f16 v143, v17, v28
	v_dual_dot2acc_f32_f16 v101, v16, v31 :: v_dual_dot2acc_f32_f16 v142, v17, v29
	v_dot2acc_f32_f16 v109, v18, v30
	v_dual_dot2acc_f32_f16 v107, v17, v30 :: v_dual_dot2acc_f32_f16 v136, v18, v28
	v_dual_dot2acc_f32_f16 v106, v17, v31 :: v_dual_dot2acc_f32_f16 v135, v18, v29
	;; [unrolled: 1-line block ×5, first 2 shown]
	ds_load_b128 v[24:27], v165 offset:23552
	v_dual_dot2acc_f32_f16 v117, v19, v31 :: v_dual_dot2acc_f32_f16 v144, v16, v33
	v_dual_dot2acc_f32_f16 v102, v16, v34 :: v_dual_dot2acc_f32_f16 v141, v17, v32
	;; [unrolled: 1-line block ×6, first 2 shown]
	ds_load_b128 v[28:31], v165 offset:23808
	v_dot2acc_f32_f16 v138, v19, v32
	v_dot2acc_f32_f16 v112, v19, v34
	;; [unrolled: 1-line block ×3, first 2 shown]
	ds_load_b128 v[16:19], v164 offset:7424
	ds_load_b128 v[32:35], v165 offset:24064
	v_cndmask_b32_e64 v6, 0, v88, s1
	s_waitcnt lgkmcnt(3)
	v_dot2acc_f32_f16 v163, v20, v24
	v_dot2acc_f32_f16 v162, v20, v25
	v_dual_dot2acc_f32_f16 v134, v20, v26 :: v_dual_dot2acc_f32_f16 v159, v21, v24
	v_dual_dot2acc_f32_f16 v133, v20, v27 :: v_dual_dot2acc_f32_f16 v158, v21, v25
	v_dot2acc_f32_f16 v155, v22, v24
	v_dual_dot2acc_f32_f16 v125, v21, v26 :: v_dual_dot2acc_f32_f16 v154, v22, v25
	v_dual_dot2acc_f32_f16 v124, v21, v27 :: v_dual_dot2acc_f32_f16 v151, v23, v24
	;; [unrolled: 1-line block ×4, first 2 shown]
	s_waitcnt lgkmcnt(2)
	v_dual_dot2acc_f32_f16 v116, v23, v26 :: v_dual_dot2acc_f32_f16 v161, v20, v28
	v_dual_dot2acc_f32_f16 v160, v20, v29 :: v_dual_dot2acc_f32_f16 v157, v21, v28
	;; [unrolled: 1-line block ×7, first 2 shown]
	v_dot2acc_f32_f16 v120, v22, v31
	v_dot2acc_f32_f16 v118, v23, v30
	v_dot2acc_f32_f16 v119, v23, v31
	ds_load_b128 v[20:23], v164 offset:7680
	s_waitcnt lgkmcnt(2)
	v_dot2acc_f32_f16 v146, v16, v25
	v_dot2acc_f32_f16 v147, v16, v24
	v_dual_dot2acc_f32_f16 v100, v16, v26 :: v_dual_dot2acc_f32_f16 v143, v17, v24
	v_dual_dot2acc_f32_f16 v101, v16, v27 :: v_dual_dot2acc_f32_f16 v142, v17, v25
	v_dot2acc_f32_f16 v109, v18, v26
	v_dual_dot2acc_f32_f16 v107, v17, v26 :: v_dual_dot2acc_f32_f16 v136, v18, v24
	v_dual_dot2acc_f32_f16 v106, v17, v27 :: v_dual_dot2acc_f32_f16 v135, v18, v25
	;; [unrolled: 1-line block ×11, first 2 shown]
	v_dot2acc_f32_f16 v138, v19, v28
	ds_load_b128 v[24:27], v165 offset:24320
	v_dot2acc_f32_f16 v112, v19, v30
	v_dot2acc_f32_f16 v113, v19, v31
	ds_load_b128 v[16:19], v164 offset:7936
	s_waitcnt lgkmcnt(2)
	v_dot2acc_f32_f16 v162, v20, v33
	v_cndmask_b32_e64 v0, 0, v91, s1
	v_cndmask_b32_e64 v2, 0, v90, s1
	;; [unrolled: 1-line block ×7, first 2 shown]
	v_cndmask_b32_e32 v11, 0, v96, vcc_lo
	ds_store_2addr_stride64_b32 v168, v14, v12 offset0:32 offset1:34
	ds_store_2addr_stride64_b32 v168, v9, v8 offset0:36 offset1:38
	;; [unrolled: 1-line block ×5, first 2 shown]
	ds_store_b32 v169, v11 offset:2048
	ds_store_b32 v170, v7 offset:2048
	ds_store_2addr_stride64_b32 v168, v0, v5 offset0:102 offset1:106
	ds_store_2addr_stride64_b32 v168, v3, v1 offset0:108 offset1:110
	s_waitcnt lgkmcnt(0)
	s_barrier
	ds_load_b128 v[0:3], v164 offset:8192
	ds_load_b128 v[4:7], v165 offset:24576
	;; [unrolled: 1-line block ×4, first 2 shown]
	v_dot2acc_f32_f16 v163, v20, v32
	v_dual_dot2acc_f32_f16 v134, v20, v34 :: v_dual_dot2acc_f32_f16 v159, v21, v32
	v_dual_dot2acc_f32_f16 v133, v20, v35 :: v_dual_dot2acc_f32_f16 v158, v21, v33
	v_dot2acc_f32_f16 v155, v22, v32
	v_dual_dot2acc_f32_f16 v125, v21, v34 :: v_dual_dot2acc_f32_f16 v154, v22, v33
	v_dual_dot2acc_f32_f16 v124, v21, v35 :: v_dual_dot2acc_f32_f16 v151, v23, v32
	;; [unrolled: 1-line block ×27, first 2 shown]
	s_waitcnt lgkmcnt(2)
	v_dual_dot2acc_f32_f16 v138, v19, v24 :: v_dual_dot2acc_f32_f16 v133, v0, v7
	v_dual_dot2acc_f32_f16 v112, v19, v26 :: v_dual_dot2acc_f32_f16 v163, v0, v4
	;; [unrolled: 1-line block ×9, first 2 shown]
	ds_load_b128 v[16:19], v165 offset:25088
	s_waitcnt lgkmcnt(2)
	v_dual_dot2acc_f32_f16 v116, v3, v6 :: v_dual_dot2acc_f32_f16 v161, v0, v8
	v_dual_dot2acc_f32_f16 v160, v0, v9 :: v_dual_dot2acc_f32_f16 v157, v1, v8
	v_dual_dot2acc_f32_f16 v129, v0, v10 :: v_dual_dot2acc_f32_f16 v156, v1, v9
	v_dual_dot2acc_f32_f16 v128, v0, v11 :: v_dual_dot2acc_f32_f16 v153, v2, v8
	v_dual_dot2acc_f32_f16 v126, v1, v10 :: v_dual_dot2acc_f32_f16 v149, v3, v8
	v_dual_dot2acc_f32_f16 v127, v1, v11 :: v_dual_dot2acc_f32_f16 v152, v2, v9
	v_dual_dot2acc_f32_f16 v121, v2, v10 :: v_dual_dot2acc_f32_f16 v148, v3, v9
	v_dot2acc_f32_f16 v120, v2, v11
	v_dot2acc_f32_f16 v118, v3, v10
	v_dot2acc_f32_f16 v119, v3, v11
	ds_load_b128 v[0:3], v164 offset:8704
	s_waitcnt lgkmcnt(2)
	v_dot2acc_f32_f16 v146, v12, v5
	v_dot2acc_f32_f16 v147, v12, v4
	v_dual_dot2acc_f32_f16 v100, v12, v6 :: v_dual_dot2acc_f32_f16 v143, v13, v4
	v_dual_dot2acc_f32_f16 v101, v12, v7 :: v_dual_dot2acc_f32_f16 v142, v13, v5
	v_dot2acc_f32_f16 v109, v14, v6
	v_dual_dot2acc_f32_f16 v107, v13, v6 :: v_dual_dot2acc_f32_f16 v136, v14, v4
	v_dual_dot2acc_f32_f16 v106, v13, v7 :: v_dual_dot2acc_f32_f16 v135, v14, v5
	v_dual_dot2acc_f32_f16 v108, v14, v7 :: v_dual_dot2acc_f32_f16 v137, v15, v5
	v_dual_dot2acc_f32_f16 v130, v15, v4 :: v_dual_dot2acc_f32_f16 v103, v12, v11
	v_dual_dot2acc_f32_f16 v114, v15, v6 :: v_dual_dot2acc_f32_f16 v145, v12, v8
	v_dual_dot2acc_f32_f16 v117, v15, v7 :: v_dual_dot2acc_f32_f16 v144, v12, v9
	v_dual_dot2acc_f32_f16 v102, v12, v10 :: v_dual_dot2acc_f32_f16 v141, v13, v8
	v_dual_dot2acc_f32_f16 v140, v13, v9 :: v_dual_dot2acc_f32_f16 v111, v14, v10
	v_dual_dot2acc_f32_f16 v105, v13, v10 :: v_dual_dot2acc_f32_f16 v132, v14, v8
	v_dual_dot2acc_f32_f16 v104, v13, v11 :: v_dual_dot2acc_f32_f16 v131, v14, v9
	v_dual_dot2acc_f32_f16 v110, v14, v11 :: v_dual_dot2acc_f32_f16 v139, v15, v9
	s_waitcnt lgkmcnt(0)
	v_dual_dot2acc_f32_f16 v138, v15, v8 :: v_dual_dot2acc_f32_f16 v133, v0, v19
	ds_load_b128 v[4:7], v165 offset:25344
	v_dual_dot2acc_f32_f16 v112, v15, v10 :: v_dual_dot2acc_f32_f16 v163, v0, v16
	v_dual_dot2acc_f32_f16 v113, v15, v11 :: v_dual_dot2acc_f32_f16 v162, v0, v17
	ds_load_b128 v[8:11], v164 offset:8960
	v_dual_dot2acc_f32_f16 v134, v0, v18 :: v_dual_dot2acc_f32_f16 v159, v1, v16
	v_dual_dot2acc_f32_f16 v158, v1, v17 :: v_dual_dot2acc_f32_f16 v155, v2, v16
	v_dual_dot2acc_f32_f16 v125, v1, v18 :: v_dual_dot2acc_f32_f16 v154, v2, v17
	v_dual_dot2acc_f32_f16 v124, v1, v19 :: v_dual_dot2acc_f32_f16 v151, v3, v16
	v_dual_dot2acc_f32_f16 v122, v2, v18 :: v_dual_dot2acc_f32_f16 v115, v3, v19
	v_dual_dot2acc_f32_f16 v123, v2, v19 :: v_dual_dot2acc_f32_f16 v150, v3, v17
	ds_load_b128 v[12:15], v165 offset:25600
	s_waitcnt lgkmcnt(2)
	v_dual_dot2acc_f32_f16 v116, v3, v18 :: v_dual_dot2acc_f32_f16 v161, v0, v4
	v_dual_dot2acc_f32_f16 v160, v0, v5 :: v_dual_dot2acc_f32_f16 v157, v1, v4
	v_dual_dot2acc_f32_f16 v129, v0, v6 :: v_dual_dot2acc_f32_f16 v156, v1, v5
	v_dual_dot2acc_f32_f16 v128, v0, v7 :: v_dual_dot2acc_f32_f16 v153, v2, v4
	v_dual_dot2acc_f32_f16 v126, v1, v6 :: v_dual_dot2acc_f32_f16 v149, v3, v4
	v_dual_dot2acc_f32_f16 v127, v1, v7 :: v_dual_dot2acc_f32_f16 v152, v2, v5
	v_dual_dot2acc_f32_f16 v121, v2, v6 :: v_dual_dot2acc_f32_f16 v148, v3, v5
	v_dot2acc_f32_f16 v120, v2, v7
	v_dot2acc_f32_f16 v118, v3, v6
	v_dot2acc_f32_f16 v119, v3, v7
	ds_load_b128 v[0:3], v164 offset:9216
	s_waitcnt lgkmcnt(2)
	v_dot2acc_f32_f16 v146, v8, v17
	v_dot2acc_f32_f16 v147, v8, v16
	v_dual_dot2acc_f32_f16 v100, v8, v18 :: v_dual_dot2acc_f32_f16 v143, v9, v16
	v_dual_dot2acc_f32_f16 v101, v8, v19 :: v_dual_dot2acc_f32_f16 v142, v9, v17
	v_dot2acc_f32_f16 v109, v10, v18
	v_dual_dot2acc_f32_f16 v107, v9, v18 :: v_dual_dot2acc_f32_f16 v136, v10, v16
	v_dual_dot2acc_f32_f16 v106, v9, v19 :: v_dual_dot2acc_f32_f16 v135, v10, v17
	v_dual_dot2acc_f32_f16 v108, v10, v19 :: v_dual_dot2acc_f32_f16 v137, v11, v17
	v_dual_dot2acc_f32_f16 v130, v11, v16 :: v_dual_dot2acc_f32_f16 v103, v8, v7
	v_dual_dot2acc_f32_f16 v114, v11, v18 :: v_dual_dot2acc_f32_f16 v145, v8, v4
	v_dual_dot2acc_f32_f16 v117, v11, v19 :: v_dual_dot2acc_f32_f16 v144, v8, v5
	v_dual_dot2acc_f32_f16 v102, v8, v6 :: v_dual_dot2acc_f32_f16 v141, v9, v4
	v_dual_dot2acc_f32_f16 v140, v9, v5 :: v_dual_dot2acc_f32_f16 v111, v10, v6
	v_dual_dot2acc_f32_f16 v105, v9, v6 :: v_dual_dot2acc_f32_f16 v132, v10, v4
	v_dual_dot2acc_f32_f16 v104, v9, v7 :: v_dual_dot2acc_f32_f16 v131, v10, v5
	v_dual_dot2acc_f32_f16 v110, v10, v7 :: v_dual_dot2acc_f32_f16 v139, v11, v5
	s_waitcnt lgkmcnt(0)
	v_dual_dot2acc_f32_f16 v138, v11, v4 :: v_dual_dot2acc_f32_f16 v133, v0, v15
	ds_load_b128 v[16:19], v165 offset:25856
	v_dual_dot2acc_f32_f16 v112, v11, v6 :: v_dual_dot2acc_f32_f16 v163, v0, v12
	v_dual_dot2acc_f32_f16 v113, v11, v7 :: v_dual_dot2acc_f32_f16 v162, v0, v13
	ds_load_b128 v[4:7], v164 offset:9472
	v_dual_dot2acc_f32_f16 v134, v0, v14 :: v_dual_dot2acc_f32_f16 v159, v1, v12
	v_dual_dot2acc_f32_f16 v158, v1, v13 :: v_dual_dot2acc_f32_f16 v155, v2, v12
	v_dual_dot2acc_f32_f16 v125, v1, v14 :: v_dual_dot2acc_f32_f16 v154, v2, v13
	v_dual_dot2acc_f32_f16 v124, v1, v15 :: v_dual_dot2acc_f32_f16 v151, v3, v12
	v_dual_dot2acc_f32_f16 v122, v2, v14 :: v_dual_dot2acc_f32_f16 v115, v3, v15
	v_dual_dot2acc_f32_f16 v123, v2, v15 :: v_dual_dot2acc_f32_f16 v150, v3, v13
	;; [unrolled: 42-line block ×9, first 2 shown]
	ds_load_b128 v[16:19], v165 offset:29696
	s_waitcnt lgkmcnt(2)
	v_dual_dot2acc_f32_f16 v116, v3, v10 :: v_dual_dot2acc_f32_f16 v161, v0, v12
	v_dual_dot2acc_f32_f16 v160, v0, v13 :: v_dual_dot2acc_f32_f16 v157, v1, v12
	;; [unrolled: 1-line block ×7, first 2 shown]
	v_dot2acc_f32_f16 v120, v2, v15
	v_dot2acc_f32_f16 v118, v3, v14
	v_dot2acc_f32_f16 v119, v3, v15
	ds_load_b128 v[0:3], v164 offset:13312
	s_waitcnt lgkmcnt(2)
	v_dot2acc_f32_f16 v146, v4, v9
	v_dot2acc_f32_f16 v147, v4, v8
	v_dual_dot2acc_f32_f16 v100, v4, v10 :: v_dual_dot2acc_f32_f16 v143, v5, v8
	v_dual_dot2acc_f32_f16 v101, v4, v11 :: v_dual_dot2acc_f32_f16 v142, v5, v9
	v_dot2acc_f32_f16 v109, v6, v10
	v_dual_dot2acc_f32_f16 v107, v5, v10 :: v_dual_dot2acc_f32_f16 v136, v6, v8
	v_dual_dot2acc_f32_f16 v106, v5, v11 :: v_dual_dot2acc_f32_f16 v135, v6, v9
	v_dual_dot2acc_f32_f16 v108, v6, v11 :: v_dual_dot2acc_f32_f16 v137, v7, v9
	v_dual_dot2acc_f32_f16 v130, v7, v8 :: v_dual_dot2acc_f32_f16 v103, v4, v15
	v_dual_dot2acc_f32_f16 v114, v7, v10 :: v_dual_dot2acc_f32_f16 v145, v4, v12
	v_dual_dot2acc_f32_f16 v117, v7, v11 :: v_dual_dot2acc_f32_f16 v144, v4, v13
	ds_load_b128 v[8:11], v165 offset:29952
	ds_load_b128 v[20:23], v164 offset:13568
	v_dual_dot2acc_f32_f16 v102, v4, v14 :: v_dual_dot2acc_f32_f16 v141, v5, v12
	v_dual_dot2acc_f32_f16 v140, v5, v13 :: v_dual_dot2acc_f32_f16 v111, v6, v14
	;; [unrolled: 1-line block ×5, first 2 shown]
	s_waitcnt lgkmcnt(2)
	v_dual_dot2acc_f32_f16 v138, v7, v12 :: v_dual_dot2acc_f32_f16 v133, v0, v19
	v_dual_dot2acc_f32_f16 v112, v7, v14 :: v_dual_dot2acc_f32_f16 v163, v0, v16
	;; [unrolled: 1-line block ×9, first 2 shown]
	ds_load_b128 v[12:15], v165 offset:30208
	s_waitcnt lgkmcnt(2)
	v_dual_dot2acc_f32_f16 v116, v3, v18 :: v_dual_dot2acc_f32_f16 v161, v0, v8
	v_dual_dot2acc_f32_f16 v160, v0, v9 :: v_dual_dot2acc_f32_f16 v157, v1, v8
	;; [unrolled: 1-line block ×7, first 2 shown]
	v_dot2acc_f32_f16 v120, v2, v11
	v_dot2acc_f32_f16 v118, v3, v10
	;; [unrolled: 1-line block ×3, first 2 shown]
	ds_load_b128 v[0:3], v164 offset:13824
	s_waitcnt lgkmcnt(2)
	v_dot2acc_f32_f16 v146, v20, v17
	v_dot2acc_f32_f16 v147, v20, v16
	v_dual_dot2acc_f32_f16 v100, v20, v18 :: v_dual_dot2acc_f32_f16 v143, v21, v16
	v_dual_dot2acc_f32_f16 v107, v21, v18 :: v_dual_dot2acc_f32_f16 v136, v22, v16
	;; [unrolled: 1-line block ×3, first 2 shown]
	v_lshl_add_u32 v16, s59, 7, v167
	v_dual_dot2acc_f32_f16 v114, v23, v18 :: v_dual_dot2acc_f32_f16 v145, v20, v8
	v_dual_dot2acc_f32_f16 v117, v23, v19 :: v_dual_dot2acc_f32_f16 v144, v20, v9
	;; [unrolled: 1-line block ×7, first 2 shown]
	s_waitcnt lgkmcnt(0)
	v_dual_dot2acc_f32_f16 v138, v23, v8 :: v_dual_dot2acc_f32_f16 v133, v0, v15
	ds_load_b128 v[4:7], v165 offset:30464
	v_dual_dot2acc_f32_f16 v112, v23, v10 :: v_dual_dot2acc_f32_f16 v163, v0, v12
	v_dual_dot2acc_f32_f16 v113, v23, v11 :: v_dual_dot2acc_f32_f16 v162, v0, v13
	ds_load_b128 v[8:11], v164 offset:14080
	v_dual_dot2acc_f32_f16 v142, v21, v17 :: v_dual_dot2acc_f32_f16 v109, v22, v18
	v_mul_lo_u32 v18, v16, s40
	v_dual_dot2acc_f32_f16 v106, v21, v19 :: v_dual_dot2acc_f32_f16 v135, v22, v17
	v_dual_dot2acc_f32_f16 v108, v22, v19 :: v_dual_dot2acc_f32_f16 v137, v23, v17
	v_lshl_add_u32 v17, s60, 7, v166
	v_dot2acc_f32_f16 v101, v20, v19
	v_dual_dot2acc_f32_f16 v134, v0, v14 :: v_dual_dot2acc_f32_f16 v159, v1, v12
	v_dual_dot2acc_f32_f16 v158, v1, v13 :: v_dual_dot2acc_f32_f16 v155, v2, v12
	s_delay_alu instid0(VALU_DEP_4)
	v_mad_u64_u32 v[19:20], null, v17, s41, v[18:19]
	v_dual_dot2acc_f32_f16 v125, v1, v14 :: v_dual_dot2acc_f32_f16 v154, v2, v13
	v_dual_dot2acc_f32_f16 v124, v1, v15 :: v_dual_dot2acc_f32_f16 v151, v3, v12
	;; [unrolled: 1-line block ×4, first 2 shown]
	s_waitcnt lgkmcnt(1)
	v_dual_dot2acc_f32_f16 v116, v3, v14 :: v_dual_dot2acc_f32_f16 v161, v0, v4
	v_dual_dot2acc_f32_f16 v160, v0, v5 :: v_dual_dot2acc_f32_f16 v157, v1, v4
	;; [unrolled: 1-line block ×7, first 2 shown]
	v_dot2acc_f32_f16 v120, v2, v7
	v_dot2acc_f32_f16 v118, v3, v6
	;; [unrolled: 1-line block ×3, first 2 shown]
	ds_load_b128 v[0:3], v164 offset:14336
	s_waitcnt lgkmcnt(1)
	v_dot2acc_f32_f16 v146, v8, v13
	v_dot2acc_f32_f16 v147, v8, v12
	v_dual_dot2acc_f32_f16 v100, v8, v14 :: v_dual_dot2acc_f32_f16 v143, v9, v12
	v_dual_dot2acc_f32_f16 v101, v8, v15 :: v_dual_dot2acc_f32_f16 v130, v11, v12
	;; [unrolled: 1-line block ×3, first 2 shown]
	v_dot2acc_f32_f16 v145, v8, v4
	v_dual_dot2acc_f32_f16 v117, v11, v15 :: v_dual_dot2acc_f32_f16 v144, v8, v5
	v_dual_dot2acc_f32_f16 v102, v8, v6 :: v_dual_dot2acc_f32_f16 v141, v9, v4
	v_dual_dot2acc_f32_f16 v105, v9, v6 :: v_dual_lshlrev_b32 v8, 1, v19
	v_dual_dot2acc_f32_f16 v142, v9, v13 :: v_dual_dot2acc_f32_f16 v109, v10, v14
	v_dual_dot2acc_f32_f16 v107, v9, v14 :: v_dual_dot2acc_f32_f16 v136, v10, v12
	;; [unrolled: 1-line block ×4, first 2 shown]
	ds_load_b128 v[12:15], v165 offset:30720
	s_lshl_b32 s22, s42, 1
	s_lshl_b32 s0, s41, 6
	buffer_load_b64 v[22:23], v8, s[20:23], 0 offen
	v_add_lshl_u32 v8, v19, s0, 1
	v_add_nc_u32_e32 v18, s40, v19
	v_dual_dot2acc_f32_f16 v140, v9, v5 :: v_dual_dot2acc_f32_f16 v111, v10, v6
	v_dual_dot2acc_f32_f16 v104, v9, v7 :: v_dual_dot2acc_f32_f16 v131, v10, v5
	buffer_load_b64 v[24:25], v8, s[20:23], 0 offen
	v_dual_dot2acc_f32_f16 v132, v10, v4 :: v_dual_dot2acc_f32_f16 v139, v11, v5
	v_dot2acc_f32_f16 v138, v11, v4
	v_dot2acc_f32_f16 v112, v11, v6
	;; [unrolled: 1-line block ×3, first 2 shown]
	v_cmp_gt_i32_e32 vcc_lo, s58, v17
	s_lshl_b32 s14, s14, 1
	s_mov_b32 s15, s23
	s_add_i32 s4, s35, s34
	s_waitcnt lgkmcnt(0)
	v_dot2acc_f32_f16 v162, v0, v13
	v_dual_dot2acc_f32_f16 v163, v0, v12 :: v_dual_dot2acc_f32_f16 v110, v10, v7
	v_lshlrev_b32_e32 v19, 1, v18
	ds_load_b128 v[4:7], v165 offset:30976
	ds_load_b128 v[8:11], v164 offset:14592
	v_dual_dot2acc_f32_f16 v134, v0, v14 :: v_dual_dot2acc_f32_f16 v155, v2, v12
	v_dot2acc_f32_f16 v133, v0, v15
	buffer_load_b64 v[26:27], v19, s[20:23], 0 offen
	v_add_lshl_u32 v19, v18, s0, 1
	v_dual_dot2acc_f32_f16 v159, v1, v12 :: v_dual_add_nc_u32 v18, s40, v18
	v_dual_dot2acc_f32_f16 v158, v1, v13 :: v_dual_dot2acc_f32_f16 v123, v2, v15
	buffer_load_b64 v[28:29], v19, s[20:23], 0 offen
	v_dual_dot2acc_f32_f16 v125, v1, v14 :: v_dual_dot2acc_f32_f16 v154, v2, v13
	v_dual_dot2acc_f32_f16 v124, v1, v15 :: v_dual_dot2acc_f32_f16 v151, v3, v12
	;; [unrolled: 1-line block ×3, first 2 shown]
	s_waitcnt lgkmcnt(1)
	v_dual_dot2acc_f32_f16 v116, v3, v14 :: v_dual_dot2acc_f32_f16 v157, v1, v4
	v_dual_dot2acc_f32_f16 v161, v0, v4 :: v_dual_dot2acc_f32_f16 v150, v3, v13
	v_dual_dot2acc_f32_f16 v160, v0, v5 :: v_dual_lshlrev_b32 v19, 1, v18
	v_dot2acc_f32_f16 v127, v1, v7
	v_dual_dot2acc_f32_f16 v129, v0, v6 :: v_dual_dot2acc_f32_f16 v156, v1, v5
	buffer_load_b64 v[30:31], v19, s[20:23], 0 offen
	v_dual_dot2acc_f32_f16 v128, v0, v7 :: v_dual_dot2acc_f32_f16 v153, v2, v4
	v_add_lshl_u32 v0, v18, s0, 1
	s_waitcnt lgkmcnt(0)
	v_dual_dot2acc_f32_f16 v101, v8, v15 :: v_dual_add_nc_u32 v18, s40, v18
	v_dot2acc_f32_f16 v146, v8, v13
	v_dual_dot2acc_f32_f16 v120, v2, v7 :: v_dual_dot2acc_f32_f16 v147, v8, v12
	buffer_load_b64 v[32:33], v0, s[20:23], 0 offen
	v_lshlrev_b32_e32 v19, 1, v18
	v_dual_dot2acc_f32_f16 v100, v8, v14 :: v_dual_dot2acc_f32_f16 v135, v10, v13
	v_dual_dot2acc_f32_f16 v108, v10, v15 :: v_dual_dot2acc_f32_f16 v145, v8, v4
	buffer_load_b64 v[34:35], v19, s[20:23], 0 offen
	v_add_lshl_u32 v19, v18, s0, 1
	v_dual_dot2acc_f32_f16 v130, v11, v12 :: v_dual_dot2acc_f32_f16 v103, v8, v7
	v_dual_dot2acc_f32_f16 v117, v11, v15 :: v_dual_dot2acc_f32_f16 v144, v8, v5
	buffer_load_b64 v[36:37], v19, s[20:23], 0 offen
	v_mad_u64_u32 v[19:20], null, s40, 61, v[18:19]
	v_dual_dot2acc_f32_f16 v102, v8, v6 :: v_dual_dot2acc_f32_f16 v131, v10, v5
	v_dual_dot2acc_f32_f16 v126, v1, v6 :: v_dual_dot2acc_f32_f16 v149, v3, v4
	;; [unrolled: 1-line block ×3, first 2 shown]
	s_delay_alu instid0(VALU_DEP_4)
	v_dual_dot2acc_f32_f16 v105, v9, v6 :: v_dual_lshlrev_b32 v18, 1, v19
	v_add_lshl_u32 v8, v19, s0, 1
	v_dual_dot2acc_f32_f16 v121, v2, v6 :: v_dual_dot2acc_f32_f16 v148, v3, v5
	v_dual_dot2acc_f32_f16 v118, v3, v6 :: v_dual_dot2acc_f32_f16 v143, v9, v12
	;; [unrolled: 1-line block ×6, first 2 shown]
	ds_load_b128 v[12:15], v165 offset:31232
	s_clause 0x1
	buffer_load_b64 v[38:39], v18, s[20:23], 0 offen
	buffer_load_b64 v[40:41], v8, s[20:23], 0 offen
	ds_load_b128 v[0:3], v164 offset:14848
	v_add_nc_u32_e32 v18, s40, v19
	v_dual_dot2acc_f32_f16 v140, v9, v5 :: v_dual_dot2acc_f32_f16 v111, v10, v6
	v_dual_dot2acc_f32_f16 v104, v9, v7 :: v_dual_dot2acc_f32_f16 v139, v11, v5
	;; [unrolled: 1-line block ×3, first 2 shown]
	v_dot2acc_f32_f16 v110, v10, v7
	v_dot2acc_f32_f16 v138, v11, v4
	;; [unrolled: 1-line block ×3, first 2 shown]
	ds_load_b128 v[4:7], v165 offset:31488
	ds_load_b128 v[8:11], v164 offset:15104
	s_waitcnt lgkmcnt(2)
	v_dot2acc_f32_f16 v159, v1, v12
	v_dot2acc_f32_f16 v163, v0, v12
	v_lshlrev_b32_e32 v19, 1, v18
	v_dual_dot2acc_f32_f16 v115, v3, v15 :: v_dual_dot2acc_f32_f16 v162, v0, v13
	v_dot2acc_f32_f16 v125, v1, v14
	v_dual_dot2acc_f32_f16 v134, v0, v14 :: v_dual_dot2acc_f32_f16 v155, v2, v12
	buffer_load_b64 v[42:43], v19, s[20:23], 0 offen
	v_add_lshl_u32 v19, v18, s0, 1
	v_add_nc_u32_e32 v18, s40, v18
	v_dual_dot2acc_f32_f16 v154, v2, v13 :: v_dual_dot2acc_f32_f16 v133, v0, v15
	s_waitcnt lgkmcnt(1)
	v_dual_dot2acc_f32_f16 v122, v2, v14 :: v_dual_dot2acc_f32_f16 v161, v0, v4
	buffer_load_b64 v[44:45], v19, s[20:23], 0 offen
	v_dual_dot2acc_f32_f16 v150, v3, v13 :: v_dual_lshlrev_b32 v19, 1, v18
	v_dot2acc_f32_f16 v129, v0, v6
	v_dual_dot2acc_f32_f16 v160, v0, v5 :: v_dual_dot2acc_f32_f16 v127, v1, v7
	buffer_load_b64 v[46:47], v19, s[20:23], 0 offen
	v_dual_dot2acc_f32_f16 v128, v0, v7 :: v_dual_dot2acc_f32_f16 v153, v2, v4
	v_add_lshl_u32 v0, v18, s0, 1
	s_waitcnt lgkmcnt(0)
	v_dual_dot2acc_f32_f16 v101, v8, v15 :: v_dual_add_nc_u32 v18, s40, v18
	v_dot2acc_f32_f16 v148, v3, v5
	v_dual_dot2acc_f32_f16 v158, v1, v13 :: v_dual_dot2acc_f32_f16 v123, v2, v15
	buffer_load_b64 v[48:49], v0, s[20:23], 0 offen
	v_lshlrev_b32_e32 v19, 1, v18
	v_add_lshl_u32 v18, v18, s0, 1
	v_dual_dot2acc_f32_f16 v124, v1, v15 :: v_dual_dot2acc_f32_f16 v151, v3, v12
	v_dual_dot2acc_f32_f16 v116, v3, v14 :: v_dual_dot2acc_f32_f16 v157, v1, v4
	s_clause 0x1
	buffer_load_b64 v[50:51], v19, s[20:23], 0 offen
	buffer_load_b64 v[52:53], v18, s[20:23], 0 offen
	v_dual_dot2acc_f32_f16 v156, v1, v5 :: v_dual_dot2acc_f32_f16 v121, v2, v6
	v_dual_dot2acc_f32_f16 v126, v1, v6 :: v_dual_dot2acc_f32_f16 v149, v3, v4
	;; [unrolled: 1-line block ×5, first 2 shown]
	ds_load_b128 v[0:3], v164 offset:15360
	v_dual_dot2acc_f32_f16 v146, v8, v13 :: v_dual_dot2acc_f32_f16 v107, v9, v14
	v_dual_dot2acc_f32_f16 v100, v8, v14 :: v_dual_dot2acc_f32_f16 v135, v10, v13
	;; [unrolled: 1-line block ×8, first 2 shown]
	ds_load_b128 v[18:21], v165 offset:31744
	ds_load_b128 v[12:15], v165 offset:32000
	v_dual_dot2acc_f32_f16 v144, v8, v5 :: v_dual_dot2acc_f32_f16 v105, v9, v6
	v_dual_dot2acc_f32_f16 v102, v8, v6 :: v_dual_dot2acc_f32_f16 v131, v10, v5
	;; [unrolled: 1-line block ×5, first 2 shown]
	v_dot2acc_f32_f16 v110, v10, v7
	v_dot2acc_f32_f16 v138, v11, v4
	;; [unrolled: 1-line block ×3, first 2 shown]
	ds_load_b128 v[4:7], v164 offset:15616
	ds_load_b128 v[8:11], v165 offset:32256
	v_cmp_gt_i32_e64 s0, s33, v16
	s_waitcnt lgkmcnt(3)
	v_dot2acc_f32_f16 v163, v0, v18
	v_dual_dot2acc_f32_f16 v162, v0, v19 :: v_dual_dot2acc_f32_f16 v159, v1, v18
	v_dual_dot2acc_f32_f16 v134, v0, v20 :: v_dual_dot2acc_f32_f16 v155, v2, v18
	;; [unrolled: 1-line block ×3, first 2 shown]
	v_dot2acc_f32_f16 v123, v2, v21
	v_dot2acc_f32_f16 v125, v1, v20
	v_dual_dot2acc_f32_f16 v124, v1, v21 :: v_dual_dot2acc_f32_f16 v151, v3, v18
	v_dual_dot2acc_f32_f16 v154, v2, v19 :: v_dual_dot2acc_f32_f16 v115, v3, v21
	s_waitcnt lgkmcnt(2)
	v_dual_dot2acc_f32_f16 v122, v2, v20 :: v_dual_dot2acc_f32_f16 v129, v0, v14
	v_dual_dot2acc_f32_f16 v150, v3, v19 :: v_dual_dot2acc_f32_f16 v161, v0, v12
	;; [unrolled: 1-line block ×8, first 2 shown]
	s_waitcnt lgkmcnt(1)
	v_dual_dot2acc_f32_f16 v120, v2, v15 :: v_dual_dot2acc_f32_f16 v147, v4, v18
	v_dual_dot2acc_f32_f16 v148, v3, v13 :: v_dual_dot2acc_f32_f16 v143, v5, v18
	;; [unrolled: 1-line block ×3, first 2 shown]
	ds_load_b128 v[0:3], v164 offset:15872
	v_dual_dot2acc_f32_f16 v146, v4, v19 :: v_dual_dot2acc_f32_f16 v107, v5, v20
	v_dual_dot2acc_f32_f16 v100, v4, v20 :: v_dual_dot2acc_f32_f16 v135, v6, v19
	;; [unrolled: 1-line block ×8, first 2 shown]
	ds_load_b128 v[18:21], v165 offset:32512
	v_dual_dot2acc_f32_f16 v144, v4, v13 :: v_dual_dot2acc_f32_f16 v141, v5, v12
	v_dual_dot2acc_f32_f16 v102, v4, v14 :: v_dual_dot2acc_f32_f16 v131, v6, v13
	v_dual_dot2acc_f32_f16 v140, v5, v13 :: v_dual_dot2acc_f32_f16 v111, v6, v14
	v_dual_dot2acc_f32_f16 v104, v5, v15 :: v_dual_dot2acc_f32_f16 v139, v7, v13
	v_dual_dot2acc_f32_f16 v132, v6, v12 :: v_dual_dot2acc_f32_f16 v113, v7, v15
	v_dot2acc_f32_f16 v110, v6, v15
	v_dot2acc_f32_f16 v138, v7, v12
	;; [unrolled: 1-line block ×3, first 2 shown]
	ds_load_b128 v[4:7], v164 offset:16128
	s_waitcnt lgkmcnt(2)
	v_dual_dot2acc_f32_f16 v159, v1, v8 :: v_dual_dot2acc_f32_f16 v150, v3, v9
	s_and_b32 s1, s0, vcc_lo
	v_dual_dot2acc_f32_f16 v134, v0, v10 :: v_dual_dot2acc_f32_f16 v155, v2, v8
	s_waitcnt lgkmcnt(1)
	v_dual_dot2acc_f32_f16 v161, v0, v18 :: v_dual_add_nc_u32 v54, 64, v17
	v_dual_dot2acc_f32_f16 v158, v1, v9 :: v_dual_dot2acc_f32_f16 v123, v2, v11
	v_dual_dot2acc_f32_f16 v154, v2, v9 :: v_dual_dot2acc_f32_f16 v115, v3, v11
	s_delay_alu instid0(VALU_DEP_3) | instskip(SKIP_2) | instid1(VALU_DEP_3)
	v_cmp_gt_i32_e64 s2, s58, v54
	v_dual_dot2acc_f32_f16 v122, v2, v10 :: v_dual_dot2acc_f32_f16 v129, v0, v20
	v_dual_dot2acc_f32_f16 v128, v0, v21 :: v_dual_dot2acc_f32_f16 v153, v2, v18
	s_and_b32 s0, s0, s2
	v_dual_dot2acc_f32_f16 v156, v1, v19 :: v_dual_dot2acc_f32_f16 v121, v2, v20
	v_dual_dot2acc_f32_f16 v152, v2, v19 :: v_dual_dot2acc_f32_f16 v119, v3, v21
	s_waitcnt lgkmcnt(0)
	v_dual_dot2acc_f32_f16 v120, v2, v21 :: v_dual_dot2acc_f32_f16 v147, v4, v8
	v_dot2acc_f32_f16 v163, v0, v8
	v_dual_dot2acc_f32_f16 v162, v0, v9 :: v_dual_dot2acc_f32_f16 v125, v1, v10
	v_dot2acc_f32_f16 v133, v0, v11
	v_dual_dot2acc_f32_f16 v160, v0, v19 :: v_dual_dot2acc_f32_f16 v157, v1, v18
	v_dual_dot2acc_f32_f16 v124, v1, v11 :: v_dual_dot2acc_f32_f16 v151, v3, v8
	;; [unrolled: 1-line block ×12, first 2 shown]
	s_waitcnt vmcnt(15)
	v_cndmask_b32_e64 v0, 0, v22, s1
	v_or_b32_e32 v22, 1, v16
	v_cndmask_b32_e64 v15, 0, v23, s1
	v_dual_dot2acc_f32_f16 v130, v7, v8 :: v_dual_dot2acc_f32_f16 v103, v4, v21
	s_delay_alu instid0(VALU_DEP_4)
	v_lshrrev_b32_e32 v1, 16, v0
	v_dual_dot2acc_f32_f16 v144, v4, v19 :: v_dual_dot2acc_f32_f16 v141, v5, v18
	s_waitcnt vmcnt(14)
	v_cndmask_b32_e64 v2, 0, v24, s0
	v_cvt_f32_f16_e32 v0, v0
	v_cvt_f32_f16_e32 v1, v1
	v_dot2acc_f32_f16 v138, v7, v18
	v_dual_dot2acc_f32_f16 v104, v5, v21 :: v_dual_dot2acc_f32_f16 v139, v7, v19
	v_cvt_f32_f16_e32 v3, v2
	s_delay_alu instid0(VALU_DEP_4) | instskip(SKIP_2) | instid1(VALU_DEP_4)
	v_add_f32_e32 v1, v162, v1
	v_lshrrev_b32_e32 v2, 16, v2
	v_dual_dot2acc_f32_f16 v132, v6, v18 :: v_dual_dot2acc_f32_f16 v113, v7, v21
	v_dual_add_f32 v3, v161, v3 :: v_dual_dot2acc_f32_f16 v112, v7, v20
	v_cndmask_b32_e64 v20, 0, v25, s0
	v_cmp_gt_i32_e64 s0, s33, v22
	v_max_f32_e32 v24, 0, v1
	v_cvt_f32_f16_e32 v2, v2
	v_dual_max_f32 v25, 0, v3 :: v_dual_dot2acc_f32_f16 v142, v5, v9
	v_dot2acc_f32_f16 v109, v6, v10
	s_and_b32 s1, s0, vcc_lo
	s_and_b32 s0, s0, s2
	s_waitcnt vmcnt(13)
	v_cndmask_b32_e64 v4, 0, v26, s1
	s_waitcnt vmcnt(12)
	v_cndmask_b32_e64 v26, 0, v29, s0
	v_dual_dot2acc_f32_f16 v106, v5, v11 :: v_dual_dot2acc_f32_f16 v137, v7, v9
	v_dual_dot2acc_f32_f16 v136, v6, v8 :: v_dual_dot2acc_f32_f16 v117, v7, v11
	v_lshrrev_b32_e32 v1, 16, v4
	v_add_nc_u32_e32 v10, 0x42, v16
	s_delay_alu instid0(VALU_DEP_2) | instskip(NEXT) | instid1(VALU_DEP_1)
	v_cvt_f32_f16_e32 v1, v1
	v_dual_add_f32 v0, v163, v0 :: v_dual_add_f32 v1, v158, v1
	s_delay_alu instid0(VALU_DEP_1) | instskip(SKIP_4) | instid1(VALU_DEP_3)
	v_dual_dot2acc_f32_f16 v110, v6, v21 :: v_dual_max_f32 v23, 0, v0
	v_cndmask_b32_e64 v21, 0, v27, s1
	v_or_b32_e32 v27, 2, v16
	v_add_f32_e32 v0, v160, v2
	v_cndmask_b32_e64 v2, 0, v28, s0
	v_cmp_gt_i32_e64 s0, s33, v27
	s_delay_alu instid0(VALU_DEP_2) | instskip(SKIP_1) | instid1(VALU_DEP_3)
	v_cvt_f32_f16_e32 v3, v2
	v_lshrrev_b32_e32 v2, 16, v2
	s_and_b32 s1, s0, vcc_lo
	s_and_b32 s0, s0, s2
	s_delay_alu instid0(VALU_DEP_2)
	v_add_f32_e32 v3, v157, v3
	s_waitcnt vmcnt(11)
	v_cndmask_b32_e64 v29, 0, v31, s1
	v_dual_max_f32 v31, 0, v1 :: v_dual_max_f32 v28, 0, v0
	v_cvt_f32_f16_e32 v0, v4
	v_max_f32_e32 v55, 0, v3
	v_cndmask_b32_e64 v4, 0, v30, s1
	v_cvt_f32_f16_e32 v2, v2
	s_waitcnt vmcnt(10)
	v_cndmask_b32_e64 v33, 0, v33, s0
	s_delay_alu instid0(VALU_DEP_3) | instskip(NEXT) | instid1(VALU_DEP_1)
	v_lshrrev_b32_e32 v1, 16, v4
	v_cvt_f32_f16_e32 v1, v1
	s_delay_alu instid0(VALU_DEP_1) | instskip(NEXT) | instid1(VALU_DEP_1)
	v_dual_add_f32 v0, v159, v0 :: v_dual_add_f32 v1, v154, v1
	v_max_f32_e32 v30, 0, v0
	v_add_f32_e32 v0, v156, v2
	v_cndmask_b32_e64 v2, 0, v32, s0
	v_or_b32_e32 v32, 3, v16
	v_max_f32_e32 v57, 0, v1
	s_delay_alu instid0(VALU_DEP_3) | instskip(NEXT) | instid1(VALU_DEP_3)
	v_cvt_f32_f16_e32 v3, v2
	v_cmp_gt_i32_e64 s0, s33, v32
	v_lshrrev_b32_e32 v2, 16, v2
	s_delay_alu instid0(VALU_DEP_3) | instskip(NEXT) | instid1(VALU_DEP_3)
	v_add_f32_e32 v3, v153, v3
	s_and_b32 s1, s0, vcc_lo
	s_delay_alu instid0(VALU_DEP_2)
	v_cvt_f32_f16_e32 v2, v2
	v_max_f32_e32 v56, 0, v0
	v_cvt_f32_f16_e32 v0, v4
	s_waitcnt vmcnt(9)
	v_cndmask_b32_e64 v4, 0, v34, s1
	s_and_b32 s0, s0, s2
	v_dual_add_f32 v1, v152, v2 :: v_dual_max_f32 v58, 0, v3
	s_waitcnt vmcnt(8)
	v_cndmask_b32_e64 v3, 0, v36, s0
	v_lshrrev_b32_e32 v2, 16, v4
	v_cndmask_b32_e64 v37, 0, v37, s0
	v_max_f32_e32 v36, 0, v1
	v_cvt_f32_f16_e32 v1, v4
	v_cvt_f32_f16_e32 v4, v3
	;; [unrolled: 1-line block ×3, first 2 shown]
	v_cndmask_b32_e64 v35, 0, v35, s1
	v_lshrrev_b32_e32 v3, 16, v3
	s_delay_alu instid0(VALU_DEP_4) | instskip(NEXT) | instid1(VALU_DEP_4)
	v_dual_add_f32 v5, v151, v1 :: v_dual_add_f32 v4, v149, v4
	v_add_f32_e32 v2, v150, v2
	v_add_f32_e32 v0, v155, v0
	s_delay_alu instid0(VALU_DEP_4) | instskip(NEXT) | instid1(VALU_DEP_4)
	v_cvt_f32_f16_e32 v3, v3
	v_max_f32_e32 v59, 0, v4
	v_add_nc_u32_e32 v4, 0x41, v16
	s_delay_alu instid0(VALU_DEP_4) | instskip(SKIP_1) | instid1(VALU_DEP_1)
	v_max_f32_e32 v34, 0, v0
	v_add_nc_u32_e32 v0, 64, v16
	v_cmp_gt_i32_e64 s0, s33, v0
	s_delay_alu instid0(VALU_DEP_1)
	s_and_b32 s1, s0, vcc_lo
	s_and_b32 s0, s0, s2
	s_waitcnt vmcnt(7)
	v_cndmask_b32_e64 v6, 0, v38, s1
	v_max_f32_e32 v38, 0, v5
	s_waitcnt vmcnt(6)
	v_cndmask_b32_e64 v5, 0, v41, s0
	v_cndmask_b32_e64 v7, 0, v40, s0
	v_cmp_gt_i32_e64 s0, s33, v4
	v_cndmask_b32_e64 v1, 0, v39, s1
	v_max_f32_e32 v39, 0, v2
	s_delay_alu instid0(VALU_DEP_3)
	s_and_b32 s1, s0, vcc_lo
	s_and_b32 s0, s0, s2
	s_waitcnt vmcnt(5)
	v_cndmask_b32_e64 v9, 0, v42, s1
	s_waitcnt vmcnt(4)
	v_cndmask_b32_e64 v12, 0, v44, s0
	v_cndmask_b32_e64 v13, 0, v43, s1
	v_add_nc_u32_e32 v44, 0x43, v16
	v_lshrrev_b32_e32 v11, 16, v9
	s_delay_alu instid0(VALU_DEP_4) | instskip(SKIP_2) | instid1(VALU_DEP_4)
	v_cvt_f32_f16_e32 v14, v12
	v_lshrrev_b32_e32 v12, 16, v12
	v_cvt_f32_f16_e32 v9, v9
	v_cvt_f32_f16_e32 v11, v11
	s_delay_alu instid0(VALU_DEP_4)
	v_add_f32_e32 v14, v141, v14
	v_add_f32_e32 v2, v148, v3
	v_lshrrev_b32_e32 v3, 16, v6
	v_cvt_f32_f16_e32 v19, v12
	v_add_f32_e32 v11, v142, v11
	v_add_f32_e32 v9, v143, v9
	s_delay_alu instid0(VALU_DEP_4) | instskip(NEXT) | instid1(VALU_DEP_3)
	v_cvt_f32_f16_e32 v3, v3
	v_dual_max_f32 v12, 0, v11 :: v_dual_max_f32 v11, 0, v14
	v_max_f32_e32 v40, 0, v2
	v_cvt_f32_f16_e32 v2, v6
	v_add_f32_e32 v14, v140, v19
	v_add_f32_e32 v8, v146, v3
	v_max_f32_e32 v42, 0, v9
	v_cvt_f32_f16_e32 v6, v7
	v_add_f32_e32 v2, v147, v2
	v_lshrrev_b32_e32 v7, 16, v7
	v_cvt_f16_f32_e32 v11, v11
	s_delay_alu instid0(VALU_DEP_3) | instskip(SKIP_3) | instid1(VALU_DEP_4)
	v_dual_max_f32 v3, 0, v2 :: v_dual_max_f32 v2, 0, v8
	v_cndmask_b32_e64 v8, 0, v45, s0
	v_cmp_gt_i32_e64 s0, s33, v10
	v_cvt_f32_f16_e32 v7, v7
	v_cvt_f16_f32_e32 v3, v3
	s_delay_alu instid0(VALU_DEP_3)
	s_and_b32 s1, s0, vcc_lo
	s_and_b32 s0, s0, s2
	s_waitcnt vmcnt(3)
	v_cndmask_b32_e64 v18, 0, v46, s1
	s_waitcnt vmcnt(2)
	v_cndmask_b32_e64 v43, 0, v49, s0
	v_cndmask_b32_e64 v19, 0, v48, s0
	v_cmp_gt_i32_e64 s0, s33, v44
	v_cndmask_b32_e64 v41, 0, v47, s1
	v_lshrrev_b32_e32 v9, 16, v18
	v_cvt_f32_f16_e32 v18, v18
	v_cmp_gt_i32_e64 s1, s24, v16
	s_and_b32 vcc_lo, s0, vcc_lo
	s_and_b32 s0, s0, s2
	v_cvt_f32_f16_e32 v9, v9
	v_add_f32_e32 v18, v136, v18
	s_waitcnt vmcnt(0)
	v_cndmask_b32_e64 v49, 0, v52, s0
	v_cndmask_b32_e32 v47, 0, v51, vcc_lo
	v_cndmask_b32_e64 v48, 0, v53, s0
	v_add_f32_e32 v45, v135, v9
	v_max_f32_e32 v9, 0, v14
	v_cvt_f32_f16_e32 v14, v19
	v_max_f32_e32 v46, 0, v18
	v_lshrrev_b32_e32 v18, 16, v19
	v_cndmask_b32_e32 v19, 0, v50, vcc_lo
	v_cmp_gt_i32_e32 vcc_lo, s43, v17
	v_add_f32_e32 v14, v132, v14
	s_lshl_b32 s2, s35, 6
	v_cvt_f32_f16_e32 v18, v18
	v_cvt_f32_f16_e32 v50, v19
	v_lshrrev_b32_e32 v19, 16, v19
	v_max_f32_e32 v51, 0, v14
	v_lshrrev_b32_e32 v14, 16, v49
	v_add_f32_e32 v18, v131, v18
	v_add_f32_e32 v50, v130, v50
	s_and_b32 s0, s1, vcc_lo
	v_add_f32_e32 v7, v144, v7
	v_cvt_f32_f16_e32 v14, v14
	v_max_f32_e32 v52, 0, v18
	v_cvt_f32_f16_e32 v18, v19
	v_cvt_f32_f16_e32 v19, v49
	v_max_f32_e32 v49, 0, v50
	v_lshrrev_b32_e32 v50, 16, v15
	v_cvt_f32_f16_e32 v15, v15
	v_add_f32_e32 v53, v139, v14
	v_mul_lo_u32 v14, v16, s34
	v_dual_add_f32 v6, v145, v6 :: v_dual_add_f32 v19, v138, v19
	v_cvt_f32_f16_e32 v50, v50
	v_add_f32_e32 v15, v134, v15
	v_cvt_f16_f32_e32 v16, v24
	v_cvt_f32_f16_e32 v24, v26
	v_add_f32_e32 v18, v137, v18
	v_add_f32_e32 v50, v133, v50
	v_dual_max_f32 v6, 0, v6 :: v_dual_max_f32 v61, 0, v19
	s_delay_alu instid0(VALU_DEP_3) | instskip(SKIP_1) | instid1(VALU_DEP_4)
	v_dual_max_f32 v45, 0, v45 :: v_dual_max_f32 v60, 0, v18
	v_mad_u64_u32 v[18:19], null, v17, s35, v[14:15]
	v_max_f32_e32 v19, 0, v50
	v_max_f32_e32 v15, 0, v15
	v_cvt_f16_f32_e32 v14, v23
	v_max_f32_e32 v53, 0, v53
	v_max_f32_e32 v7, 0, v7
	v_cvt_f16_f32_e32 v17, v19
	v_cvt_f16_f32_e32 v15, v15
	v_lshrrev_b32_e32 v19, 16, v20
	v_pack_b32_f16 v14, v14, v16
	v_cndmask_b32_e64 v16, 0x80000000, 0, s0
	v_cmp_gt_i32_e64 s0, s43, v54
	v_pack_b32_f16 v15, v15, v17
	v_cvt_f32_f16_e32 v17, v19
	v_cvt_f32_f16_e32 v19, v20
	v_lshl_add_u32 v16, v18, 1, v16
	s_and_b32 s1, s1, s0
	v_cvt_f16_f32_e32 v20, v28
	v_add_f32_e32 v17, v128, v17
	v_add_f32_e32 v19, v129, v19
	buffer_store_b64 v[14:15], v16, s[12:15], 0 offen
	v_add_nc_u32_e32 v16, s2, v18
	v_cvt_f16_f32_e32 v14, v25
	v_max_f32_e32 v15, 0, v17
	v_lshrrev_b32_e32 v17, 16, v26
	v_max_f32_e32 v19, 0, v19
	v_cndmask_b32_e64 v23, 0x80000000, 0, s1
	v_pack_b32_f16 v14, v14, v20
	v_cvt_f16_f32_e32 v15, v15
	v_cvt_f32_f16_e32 v17, v17
	v_cvt_f16_f32_e32 v19, v19
	v_lshl_add_u32 v20, v16, 1, v23
	v_add_nc_u32_e32 v23, s34, v16
	v_cmp_gt_i32_e64 s1, s24, v22
	v_add_f32_e32 v17, v127, v17
	v_pack_b32_f16 v15, v19, v15
	v_add_f32_e32 v19, v126, v24
	v_cvt_f16_f32_e32 v24, v55
	s_and_b32 s3, s1, s0
	v_max_f32_e32 v16, 0, v17
	v_lshrrev_b32_e32 v17, 16, v21
	v_cvt_f32_f16_e32 v21, v21
	buffer_store_b64 v[14:15], v20, s[12:15], 0 offen
	v_cvt_f32_f16_e32 v20, v33
	v_max_f32_e32 v19, 0, v19
	v_cvt_f32_f16_e32 v17, v17
	v_add_f32_e32 v21, v125, v21
	v_cvt_f16_f32_e32 v26, v16
	v_add_f32_e32 v20, v121, v20
	v_cvt_f16_f32_e32 v19, v19
	v_add_f32_e32 v22, v124, v17
	v_max_f32_e32 v21, 0, v21
	v_cvt_f16_f32_e32 v25, v56
	s_and_b32 s1, s1, vcc_lo
	v_pack_b32_f16 v17, v19, v26
	v_max_f32_e32 v22, 0, v22
	v_cndmask_b32_e64 v19, 0x80000000, 0, s3
	v_cvt_f16_f32_e32 v21, v21
	v_lshrrev_b32_e32 v26, 16, v29
	v_pack_b32_f16 v16, v24, v25
	v_cvt_f16_f32_e32 v22, v22
	v_add_nc_u32_e32 v24, s34, v18
	v_cvt_f16_f32_e32 v18, v30
	v_cvt_f16_f32_e32 v25, v31
	v_cndmask_b32_e64 v28, 0x80000000, 0, s1
	v_lshl_add_u32 v30, v23, 1, v19
	v_pack_b32_f16 v19, v21, v22
	v_cvt_f32_f16_e32 v21, v26
	v_pack_b32_f16 v18, v18, v25
	v_cvt_f32_f16_e32 v14, v29
	buffer_store_b64 v[16:17], v30, s[12:15], 0 offen
	v_cmp_gt_i32_e64 s1, s24, v27
	v_add_f32_e32 v15, v123, v21
	v_lshl_add_u32 v22, v24, 1, v28
	v_dual_add_f32 v14, v122, v14 :: v_dual_add_nc_u32 v23, s34, v23
	s_delay_alu instid0(VALU_DEP_3)
	v_dual_max_f32 v15, 0, v15 :: v_dual_add_nc_u32 v16, s34, v24
	buffer_store_b64 v[18:19], v22, s[12:15], 0 offen
	v_lshrrev_b32_e32 v18, 16, v33
	v_cvt_f32_f16_e32 v24, v37
	v_max_f32_e32 v14, 0, v14
	s_and_b32 s3, s1, vcc_lo
	v_cvt_f16_f32_e32 v15, v15
	v_cvt_f32_f16_e32 v18, v18
	v_cndmask_b32_e64 v22, 0x80000000, 0, s3
	v_cvt_f16_f32_e32 v21, v14
	v_cvt_f16_f32_e32 v17, v34
	;; [unrolled: 1-line block ×3, first 2 shown]
	v_add_f32_e32 v18, v120, v18
	s_and_b32 s1, s1, s0
	v_pack_b32_f16 v15, v21, v15
	v_lshl_add_u32 v21, v16, 1, v22
	v_pack_b32_f16 v14, v17, v19
	v_max_f32_e32 v16, 0, v18
	v_lshrrev_b32_e32 v18, 16, v37
	v_max_f32_e32 v17, 0, v20
	v_cvt_f16_f32_e32 v19, v58
	v_cvt_f16_f32_e32 v20, v36
	;; [unrolled: 1-line block ×3, first 2 shown]
	v_cvt_f32_f16_e32 v18, v18
	v_cvt_f16_f32_e32 v17, v17
	v_cvt_f16_f32_e32 v25, v40
	v_pack_b32_f16 v16, v19, v20
	s_delay_alu instid0(VALU_DEP_4) | instskip(SKIP_3) | instid1(VALU_DEP_4)
	v_dual_add_f32 v19, v118, v24 :: v_dual_add_f32 v18, v119, v18
	v_cndmask_b32_e64 v20, 0x80000000, 0, s1
	v_cmp_gt_i32_e64 s1, s24, v32
	v_cvt_f16_f32_e32 v24, v59
	v_dual_max_f32 v19, 0, v19 :: v_dual_max_f32 v18, 0, v18
	v_lshrrev_b32_e32 v28, 16, v35
	s_delay_alu instid0(VALU_DEP_4)
	s_and_b32 s3, s1, s0
	v_pack_b32_f16 v17, v17, v22
	v_add_nc_u32_e32 v22, s34, v23
	v_cvt_f16_f32_e32 v26, v18
	v_cvt_f16_f32_e32 v19, v19
	v_cndmask_b32_e64 v27, 0x80000000, 0, s3
	v_pack_b32_f16 v18, v24, v25
	v_cvt_f32_f16_e32 v24, v28
	v_cvt_f32_f16_e32 v25, v35
	v_lshl_add_u32 v20, v23, 1, v20
	v_pack_b32_f16 v19, v19, v26
	v_lshl_add_u32 v23, v22, 1, v27
	s_clause 0x2
	buffer_store_b64 v[14:15], v21, s[12:15], 0 offen
	buffer_store_b64 v[16:17], v20, s[12:15], 0 offen
	;; [unrolled: 1-line block ×3, first 2 shown]
	v_dual_add_f32 v14, v115, v24 :: v_dual_add_f32 v15, v116, v25
	v_lshrrev_b32_e32 v17, 16, v47
	v_subrev_nc_u32_e32 v16, s2, v22
	v_cvt_f32_f16_e32 v20, v47
	s_delay_alu instid0(VALU_DEP_4) | instskip(NEXT) | instid1(VALU_DEP_4)
	v_dual_max_f32 v14, 0, v14 :: v_dual_max_f32 v15, 0, v15
	v_cvt_f32_f16_e32 v17, v17
	s_and_b32 s1, s1, vcc_lo
	v_cvt_f16_f32_e32 v18, v38
	v_cvt_f16_f32_e32 v19, v39
	;; [unrolled: 1-line block ×4, first 2 shown]
	v_dual_add_f32 v17, v117, v17 :: v_dual_lshlrev_b32 v22, 1, v16
	v_add_f32_e32 v20, v114, v20
	v_cndmask_b32_e64 v23, 0x80000000, 0, s1
	v_pack_b32_f16 v14, v18, v19
	v_pack_b32_f16 v15, v15, v21
	s_delay_alu instid0(VALU_DEP_4) | instskip(NEXT) | instid1(VALU_DEP_4)
	v_dual_max_f32 v17, 0, v17 :: v_dual_max_f32 v18, 0, v20
	v_add_nc_u32_e32 v19, v22, v23
	v_lshrrev_b32_e32 v23, 16, v48
	v_cmp_gt_i32_e64 s1, s24, v44
	v_cvt_f16_f32_e32 v20, v49
	v_cvt_f16_f32_e32 v21, v60
	;; [unrolled: 1-line block ×4, first 2 shown]
	buffer_store_b64 v[14:15], v19, s[12:15], 0 offen
	v_cvt_f32_f16_e32 v19, v23
	s_and_b32 s3, s1, vcc_lo
	v_pack_b32_f16 v14, v20, v21
	v_cvt_f32_f16_e32 v20, v48
	v_pack_b32_f16 v15, v18, v17
	v_cndmask_b32_e64 v17, 0x80000000, 0, s3
	v_add_f32_e32 v18, v113, v19
	s_lshl_b32 s3, s34, 7
	v_add_f32_e32 v19, v112, v20
	v_lshl_add_u32 v21, s4, 6, v16
	v_add3_u32 v20, v17, s3, v22
	v_max_f32_e32 v16, 0, v18
	v_lshrrev_b32_e32 v17, 16, v43
	v_max_f32_e32 v18, 0, v19
	s_and_b32 s1, s1, s0
	v_cvt_f16_f32_e32 v19, v61
	v_cvt_f16_f32_e32 v23, v16
	v_cvt_f32_f16_e32 v16, v17
	v_cvt_f32_f16_e32 v17, v43
	v_cvt_f16_f32_e32 v22, v53
	v_cvt_f16_f32_e32 v18, v18
	v_cndmask_b32_e64 v24, 0x80000000, 0, s1
	s_delay_alu instid0(VALU_DEP_4)
	v_dual_add_f32 v25, v110, v16 :: v_dual_add_f32 v26, v111, v17
	v_cmp_ge_i32_e64 s1, s24, v44
	v_pack_b32_f16 v16, v19, v22
	v_pack_b32_f16 v17, v18, v23
	v_lshl_add_u32 v22, v21, 1, v24
	v_dual_max_f32 v18, 0, v25 :: v_dual_max_f32 v19, 0, v26
	v_cvt_f16_f32_e32 v23, v51
	v_cvt_f16_f32_e32 v24, v52
	v_lshrrev_b32_e32 v26, 16, v41
	s_and_b32 s1, s1, s0
	v_cvt_f16_f32_e32 v25, v18
	v_cvt_f16_f32_e32 v19, v19
	v_subrev_nc_u32_e32 v21, s34, v21
	v_cndmask_b32_e64 v27, 0x80000000, 0, s1
	v_pack_b32_f16 v18, v23, v24
	v_cvt_f32_f16_e32 v23, v26
	v_cvt_f32_f16_e32 v24, v41
	v_pack_b32_f16 v19, v19, v25
	v_lshl_add_u32 v25, v21, 1, v27
	s_clause 0x1
	buffer_store_b64 v[14:15], v20, s[12:15], 0 offen
	buffer_store_b64 v[16:17], v22, s[12:15], 0 offen
	v_dual_add_f32 v14, v108, v23 :: v_dual_add_f32 v15, v109, v24
	v_cmp_gt_i32_e64 s1, s24, v10
	buffer_store_b64 v[18:19], v25, s[12:15], 0 offen
	v_lshrrev_b32_e32 v18, 16, v13
	v_dual_max_f32 v14, 0, v14 :: v_dual_max_f32 v15, 0, v15
	v_cvt_f16_f32_e32 v17, v46
	v_cvt_f16_f32_e32 v19, v45
	s_delay_alu instid0(VALU_DEP_4) | instskip(NEXT) | instid1(VALU_DEP_4)
	v_cvt_f32_f16_e32 v18, v18
	v_cvt_f16_f32_e32 v14, v14
	v_cvt_f16_f32_e32 v15, v15
	v_cvt_f32_f16_e32 v20, v13
	s_and_b32 s1, s1, vcc_lo
	v_subrev_nc_u32_e32 v16, s2, v21
	v_cndmask_b32_e64 v21, 0x80000000, 0, s1
	v_pack_b32_f16 v13, v17, v19
	v_pack_b32_f16 v14, v15, v14
	v_add_f32_e32 v15, v106, v18
	v_add_f32_e32 v17, v107, v20
	v_lshrrev_b32_e32 v20, 16, v8
	v_cmp_ge_i32_e64 s1, s24, v10
	v_lshl_add_u32 v18, v16, 1, v21
	v_subrev_nc_u32_e32 v19, s34, v16
	v_cvt_f16_f32_e32 v16, v42
	v_max_f32_e32 v15, 0, v15
	v_max_f32_e32 v17, 0, v17
	v_cvt_f16_f32_e32 v10, v12
	v_cvt_f32_f16_e32 v20, v20
	v_cvt_f32_f16_e32 v8, v8
	s_and_b32 s1, s1, vcc_lo
	v_cvt_f16_f32_e32 v12, v15
	v_cvt_f16_f32_e32 v17, v17
	v_cndmask_b32_e64 v21, 0x80000000, 0, s1
	v_pack_b32_f16 v15, v16, v10
	v_add_f32_e32 v10, v104, v20
	v_add_f32_e32 v8, v105, v8
	v_pack_b32_f16 v16, v17, v12
	v_lshl_add_u32 v12, v19, 1, v21
	s_delay_alu instid0(VALU_DEP_4) | instskip(NEXT) | instid1(VALU_DEP_4)
	v_dual_max_f32 v10, 0, v10 :: v_dual_add_nc_u32 v17, s2, v19
	v_max_f32_e32 v8, 0, v8
	v_lshrrev_b32_e32 v19, 16, v5
	v_cvt_f16_f32_e32 v9, v9
	v_cvt_f32_f16_e32 v5, v5
	v_cvt_f16_f32_e32 v10, v10
	v_cvt_f16_f32_e32 v20, v8
	v_cvt_f32_f16_e32 v19, v19
	v_cmp_gt_i32_e64 s1, s24, v4
	v_pack_b32_f16 v8, v11, v9
	v_cvt_f16_f32_e32 v6, v6
	v_pack_b32_f16 v9, v20, v10
	v_dual_add_f32 v10, v103, v19 :: v_dual_add_f32 v5, v102, v5
	v_cvt_f16_f32_e32 v7, v7
	v_lshrrev_b32_e32 v19, 16, v1
	s_and_b32 s1, s1, s0
	v_cvt_f32_f16_e32 v1, v1
	v_cndmask_b32_e64 v21, 0x80000000, 0, s1
	v_max_f32_e32 v20, 0, v5
	v_pack_b32_f16 v5, v6, v7
	v_cvt_f32_f16_e32 v7, v19
	v_cmp_ge_i32_e64 s1, s24, v4
	v_cmp_gt_i32_e64 s2, s24, v0
	v_lshl_add_u32 v11, v17, 1, v21
	v_max_f32_e32 v10, 0, v10
	v_subrev_nc_u32_e32 v17, s34, v17
	v_dual_add_f32 v7, v101, v7 :: v_dual_add_f32 v0, v100, v1
	s_and_b32 s0, s1, s0
	s_delay_alu instid0(VALU_DEP_3) | instskip(SKIP_1) | instid1(VALU_DEP_3)
	v_cvt_f16_f32_e32 v6, v10
	v_cndmask_b32_e64 v1, 0x80000000, 0, s0
	v_max_f32_e32 v7, 0, v7
	s_and_b32 s0, s2, vcc_lo
	v_lshlrev_b32_e32 v10, 1, v17
	v_max_f32_e32 v0, 0, v0
	v_cndmask_b32_e64 v17, 0x80000000, 0, s0
	s_lshl_b32 s0, s35, 7
	v_cvt_f16_f32_e32 v4, v20
	v_cvt_f16_f32_e32 v2, v2
	v_cvt_f16_f32_e32 v7, v7
	v_cvt_f16_f32_e32 v19, v0
	v_subrev_nc_u32_e32 v17, s0, v17
	v_pack_b32_f16 v6, v4, v6
	v_add_nc_u32_e32 v4, v10, v1
	v_pack_b32_f16 v0, v3, v2
	v_pack_b32_f16 v1, v19, v7
	v_add_nc_u32_e32 v2, v17, v10
	s_clause 0x4
	buffer_store_b64 v[13:14], v18, s[12:15], 0 offen
	buffer_store_b64 v[15:16], v12, s[12:15], 0 offen
	;; [unrolled: 1-line block ×5, first 2 shown]
	s_nop 0
	s_sendmsg sendmsg(MSG_DEALLOC_VGPRS)
	s_endpgm
	.section	.rodata,"a",@progbits
	.p2align	6, 0x0
	.amdhsa_kernel _ZN2ck16tensor_operation6device12_GLOBAL__N_137kernel_grouped_conv_fwd_dl_multiple_dINS_32GridwiseGemmDlMultipleD_km_kn_mnILi256EDF16_fNS_5TupleIJDF16_EEEDF16_NS0_12element_wise11PassThroughES8_NS7_7AddReluELNS_25InMemoryDataOperationEnumE0ENS_16TensorDescriptorINS5_IJNS_5EmbedINS5_IJiiiiEEESD_Lb0EEENS_11PassThroughIiEENS_3PadIiiiLb0EEESI_SG_SG_NSC_INS5_IJiiEEESJ_Lb0EEESK_SG_NS_23Merge_v2_magic_divisionINS5_IJiiiEEEEESN_NS_8RightPadIiiLb0EEESP_NS_7UnMergeISJ_Lb0EEESG_EEENS5_IJNS_8SequenceIJLi0EEEENST_IJLi1EEEENST_IJLi2EEEENST_IJLi3EEEENST_IJLi4EEEENST_IJLi5EEEENST_IJLi6EEEENST_IJLi7EEEENST_IJLi8EEEENST_IJLi9ELi11ELi13EEEENST_IJLi10ELi12ELi14EEEENST_IJLi15EEEENST_IJLi16EEEENST_IJLi18EEEENST_IJLi17EEEEEEENS5_IJNST_IJLi1ELi2ELi3ELi4EEEESZ_S10_S11_S12_NST_IJLi9EEEENST_IJLi10ELi11EEEENST_IJLi12ELi13EEEENST_IJLi14EEEES15_S16_S18_S17_NST_IJLi19ELi20EEEENST_IJLi21EEEEEEENST_IJLi19ELi21ELi20EEEElEENSB_INS5_IJSR_SP_SP_SR_SG_EEENS5_IJSU_SV_SW_SY_SX_EEENS5_IJNST_IJLi1ELi2EEEESX_SY_NST_IJLi5ELi6EEEES11_EEENST_IJLi5ELi7ELi6EEEElEENSB_INS5_IJSK_SP_SP_EEENS5_IJSU_SV_SW_EEENS5_IJS1M_SX_SY_EEENST_IJLi3ELi4EEEElEELi128ELi128ELi16ELi2ELi4ELi4ELi1ENST_IJLi8ELi2EEEES1W_NST_IJLi8ELi1ELi1ELi2EEEENST_IJLi2ELi1ELi128ELi1EEEENST_IJLi1ELi2ELi0ELi3EEEES1Z_NST_IJLi4ELi1ELi1ELi2EEEES1Z_NST_IJLi1ELi1ELi1ELi2EEEES1X_S1Y_S1Z_S1Z_S20_S1Z_S21_NST_IJLi0ELi1ELi2ELi3ELi4ELi5EEEELi5ELi4EEEDF16_NS5_IJPKDF16_EEEDF16_S8_S8_S9_NSB_INS5_IJSE_SG_SI_SI_SG_SG_SK_SK_SG_SN_SN_SP_SP_SR_SG_SG_NSQ_INS5_IJiNS_17integral_constantIiLi128EEEEEELb0EEENSF_INS27_IiLi2EEEEEEEENS5_IJSU_SV_SW_SX_SY_SZ_S10_S11_S12_S13_S14_S15_S16_S17_S18_NST_IJLi19EEEES1G_NST_IJLi20EEEEEEENS5_IJS1A_SZ_S10_S11_S12_S1B_S1C_S1D_S1E_S15_S16_S18_S17_S1F_S1G_NST_IJLi22EEEENST_IJLi23ELi24EEEENST_IJLi25EEEEEEENST_IJLi22ELi23ELi24ELi25EEEElEENSB_INS5_IJSR_SP_SP_SR_SG_SG_S2A_S2C_EEENS5_IJSU_SV_SW_SY_SX_SZ_S11_S10_EEENS5_IJS1M_SX_SY_S1N_S11_S12_NST_IJLi9ELi10EEEENST_IJLi11EEEEEEENST_IJLi8ELi9ELi10ELi11EEEElEENS5_IJNSB_INS5_IJSK_SP_SP_NSQ_INS5_IJiS2B_NS27_IiLi64EEEEEELb0EEES2W_EEENS5_IJSU_SV_SW_SX_SY_EEENS5_IJS1M_SX_SY_NST_IJLi5ELi6ELi7EEEENST_IJLi8ELi9ELi10EEEEEEENST_IJLi5ELi6ELi7ELi8ELi9ELi10EEEElEEEEES33_NS_31BlockToCTileMap_M00_N00_M01_N01ILi128ELi128ES1V_Lb0EEENS1_30ComputePtrOffsetOfStridedBatchILi1ELi1ELi1EvEELb1ELb1EEEvPKT0_S3B_T1_PT2_T3_T4_T5_iT6_T7_T8_T9_T10_T11_
		.amdhsa_group_segment_fixed_size 32768
		.amdhsa_private_segment_fixed_size 0
		.amdhsa_kernarg_size 968
		.amdhsa_user_sgpr_count 15
		.amdhsa_user_sgpr_dispatch_ptr 0
		.amdhsa_user_sgpr_queue_ptr 0
		.amdhsa_user_sgpr_kernarg_segment_ptr 1
		.amdhsa_user_sgpr_dispatch_id 0
		.amdhsa_user_sgpr_private_segment_size 0
		.amdhsa_wavefront_size32 1
		.amdhsa_uses_dynamic_stack 0
		.amdhsa_enable_private_segment 0
		.amdhsa_system_sgpr_workgroup_id_x 1
		.amdhsa_system_sgpr_workgroup_id_y 0
		.amdhsa_system_sgpr_workgroup_id_z 0
		.amdhsa_system_sgpr_workgroup_info 0
		.amdhsa_system_vgpr_workitem_id 0
		.amdhsa_next_free_vgpr 178
		.amdhsa_next_free_sgpr 72
		.amdhsa_reserve_vcc 1
		.amdhsa_float_round_mode_32 0
		.amdhsa_float_round_mode_16_64 0
		.amdhsa_float_denorm_mode_32 3
		.amdhsa_float_denorm_mode_16_64 3
		.amdhsa_dx10_clamp 1
		.amdhsa_ieee_mode 1
		.amdhsa_fp16_overflow 0
		.amdhsa_workgroup_processor_mode 1
		.amdhsa_memory_ordered 1
		.amdhsa_forward_progress 0
		.amdhsa_shared_vgpr_count 0
		.amdhsa_exception_fp_ieee_invalid_op 0
		.amdhsa_exception_fp_denorm_src 0
		.amdhsa_exception_fp_ieee_div_zero 0
		.amdhsa_exception_fp_ieee_overflow 0
		.amdhsa_exception_fp_ieee_underflow 0
		.amdhsa_exception_fp_ieee_inexact 0
		.amdhsa_exception_int_div_zero 0
	.end_amdhsa_kernel
	.section	.text._ZN2ck16tensor_operation6device12_GLOBAL__N_137kernel_grouped_conv_fwd_dl_multiple_dINS_32GridwiseGemmDlMultipleD_km_kn_mnILi256EDF16_fNS_5TupleIJDF16_EEEDF16_NS0_12element_wise11PassThroughES8_NS7_7AddReluELNS_25InMemoryDataOperationEnumE0ENS_16TensorDescriptorINS5_IJNS_5EmbedINS5_IJiiiiEEESD_Lb0EEENS_11PassThroughIiEENS_3PadIiiiLb0EEESI_SG_SG_NSC_INS5_IJiiEEESJ_Lb0EEESK_SG_NS_23Merge_v2_magic_divisionINS5_IJiiiEEEEESN_NS_8RightPadIiiLb0EEESP_NS_7UnMergeISJ_Lb0EEESG_EEENS5_IJNS_8SequenceIJLi0EEEENST_IJLi1EEEENST_IJLi2EEEENST_IJLi3EEEENST_IJLi4EEEENST_IJLi5EEEENST_IJLi6EEEENST_IJLi7EEEENST_IJLi8EEEENST_IJLi9ELi11ELi13EEEENST_IJLi10ELi12ELi14EEEENST_IJLi15EEEENST_IJLi16EEEENST_IJLi18EEEENST_IJLi17EEEEEEENS5_IJNST_IJLi1ELi2ELi3ELi4EEEESZ_S10_S11_S12_NST_IJLi9EEEENST_IJLi10ELi11EEEENST_IJLi12ELi13EEEENST_IJLi14EEEES15_S16_S18_S17_NST_IJLi19ELi20EEEENST_IJLi21EEEEEEENST_IJLi19ELi21ELi20EEEElEENSB_INS5_IJSR_SP_SP_SR_SG_EEENS5_IJSU_SV_SW_SY_SX_EEENS5_IJNST_IJLi1ELi2EEEESX_SY_NST_IJLi5ELi6EEEES11_EEENST_IJLi5ELi7ELi6EEEElEENSB_INS5_IJSK_SP_SP_EEENS5_IJSU_SV_SW_EEENS5_IJS1M_SX_SY_EEENST_IJLi3ELi4EEEElEELi128ELi128ELi16ELi2ELi4ELi4ELi1ENST_IJLi8ELi2EEEES1W_NST_IJLi8ELi1ELi1ELi2EEEENST_IJLi2ELi1ELi128ELi1EEEENST_IJLi1ELi2ELi0ELi3EEEES1Z_NST_IJLi4ELi1ELi1ELi2EEEES1Z_NST_IJLi1ELi1ELi1ELi2EEEES1X_S1Y_S1Z_S1Z_S20_S1Z_S21_NST_IJLi0ELi1ELi2ELi3ELi4ELi5EEEELi5ELi4EEEDF16_NS5_IJPKDF16_EEEDF16_S8_S8_S9_NSB_INS5_IJSE_SG_SI_SI_SG_SG_SK_SK_SG_SN_SN_SP_SP_SR_SG_SG_NSQ_INS5_IJiNS_17integral_constantIiLi128EEEEEELb0EEENSF_INS27_IiLi2EEEEEEEENS5_IJSU_SV_SW_SX_SY_SZ_S10_S11_S12_S13_S14_S15_S16_S17_S18_NST_IJLi19EEEES1G_NST_IJLi20EEEEEEENS5_IJS1A_SZ_S10_S11_S12_S1B_S1C_S1D_S1E_S15_S16_S18_S17_S1F_S1G_NST_IJLi22EEEENST_IJLi23ELi24EEEENST_IJLi25EEEEEEENST_IJLi22ELi23ELi24ELi25EEEElEENSB_INS5_IJSR_SP_SP_SR_SG_SG_S2A_S2C_EEENS5_IJSU_SV_SW_SY_SX_SZ_S11_S10_EEENS5_IJS1M_SX_SY_S1N_S11_S12_NST_IJLi9ELi10EEEENST_IJLi11EEEEEEENST_IJLi8ELi9ELi10ELi11EEEElEENS5_IJNSB_INS5_IJSK_SP_SP_NSQ_INS5_IJiS2B_NS27_IiLi64EEEEEELb0EEES2W_EEENS5_IJSU_SV_SW_SX_SY_EEENS5_IJS1M_SX_SY_NST_IJLi5ELi6ELi7EEEENST_IJLi8ELi9ELi10EEEEEEENST_IJLi5ELi6ELi7ELi8ELi9ELi10EEEElEEEEES33_NS_31BlockToCTileMap_M00_N00_M01_N01ILi128ELi128ES1V_Lb0EEENS1_30ComputePtrOffsetOfStridedBatchILi1ELi1ELi1EvEELb1ELb1EEEvPKT0_S3B_T1_PT2_T3_T4_T5_iT6_T7_T8_T9_T10_T11_,"axG",@progbits,_ZN2ck16tensor_operation6device12_GLOBAL__N_137kernel_grouped_conv_fwd_dl_multiple_dINS_32GridwiseGemmDlMultipleD_km_kn_mnILi256EDF16_fNS_5TupleIJDF16_EEEDF16_NS0_12element_wise11PassThroughES8_NS7_7AddReluELNS_25InMemoryDataOperationEnumE0ENS_16TensorDescriptorINS5_IJNS_5EmbedINS5_IJiiiiEEESD_Lb0EEENS_11PassThroughIiEENS_3PadIiiiLb0EEESI_SG_SG_NSC_INS5_IJiiEEESJ_Lb0EEESK_SG_NS_23Merge_v2_magic_divisionINS5_IJiiiEEEEESN_NS_8RightPadIiiLb0EEESP_NS_7UnMergeISJ_Lb0EEESG_EEENS5_IJNS_8SequenceIJLi0EEEENST_IJLi1EEEENST_IJLi2EEEENST_IJLi3EEEENST_IJLi4EEEENST_IJLi5EEEENST_IJLi6EEEENST_IJLi7EEEENST_IJLi8EEEENST_IJLi9ELi11ELi13EEEENST_IJLi10ELi12ELi14EEEENST_IJLi15EEEENST_IJLi16EEEENST_IJLi18EEEENST_IJLi17EEEEEEENS5_IJNST_IJLi1ELi2ELi3ELi4EEEESZ_S10_S11_S12_NST_IJLi9EEEENST_IJLi10ELi11EEEENST_IJLi12ELi13EEEENST_IJLi14EEEES15_S16_S18_S17_NST_IJLi19ELi20EEEENST_IJLi21EEEEEEENST_IJLi19ELi21ELi20EEEElEENSB_INS5_IJSR_SP_SP_SR_SG_EEENS5_IJSU_SV_SW_SY_SX_EEENS5_IJNST_IJLi1ELi2EEEESX_SY_NST_IJLi5ELi6EEEES11_EEENST_IJLi5ELi7ELi6EEEElEENSB_INS5_IJSK_SP_SP_EEENS5_IJSU_SV_SW_EEENS5_IJS1M_SX_SY_EEENST_IJLi3ELi4EEEElEELi128ELi128ELi16ELi2ELi4ELi4ELi1ENST_IJLi8ELi2EEEES1W_NST_IJLi8ELi1ELi1ELi2EEEENST_IJLi2ELi1ELi128ELi1EEEENST_IJLi1ELi2ELi0ELi3EEEES1Z_NST_IJLi4ELi1ELi1ELi2EEEES1Z_NST_IJLi1ELi1ELi1ELi2EEEES1X_S1Y_S1Z_S1Z_S20_S1Z_S21_NST_IJLi0ELi1ELi2ELi3ELi4ELi5EEEELi5ELi4EEEDF16_NS5_IJPKDF16_EEEDF16_S8_S8_S9_NSB_INS5_IJSE_SG_SI_SI_SG_SG_SK_SK_SG_SN_SN_SP_SP_SR_SG_SG_NSQ_INS5_IJiNS_17integral_constantIiLi128EEEEEELb0EEENSF_INS27_IiLi2EEEEEEEENS5_IJSU_SV_SW_SX_SY_SZ_S10_S11_S12_S13_S14_S15_S16_S17_S18_NST_IJLi19EEEES1G_NST_IJLi20EEEEEEENS5_IJS1A_SZ_S10_S11_S12_S1B_S1C_S1D_S1E_S15_S16_S18_S17_S1F_S1G_NST_IJLi22EEEENST_IJLi23ELi24EEEENST_IJLi25EEEEEEENST_IJLi22ELi23ELi24ELi25EEEElEENSB_INS5_IJSR_SP_SP_SR_SG_SG_S2A_S2C_EEENS5_IJSU_SV_SW_SY_SX_SZ_S11_S10_EEENS5_IJS1M_SX_SY_S1N_S11_S12_NST_IJLi9ELi10EEEENST_IJLi11EEEEEEENST_IJLi8ELi9ELi10ELi11EEEElEENS5_IJNSB_INS5_IJSK_SP_SP_NSQ_INS5_IJiS2B_NS27_IiLi64EEEEEELb0EEES2W_EEENS5_IJSU_SV_SW_SX_SY_EEENS5_IJS1M_SX_SY_NST_IJLi5ELi6ELi7EEEENST_IJLi8ELi9ELi10EEEEEEENST_IJLi5ELi6ELi7ELi8ELi9ELi10EEEElEEEEES33_NS_31BlockToCTileMap_M00_N00_M01_N01ILi128ELi128ES1V_Lb0EEENS1_30ComputePtrOffsetOfStridedBatchILi1ELi1ELi1EvEELb1ELb1EEEvPKT0_S3B_T1_PT2_T3_T4_T5_iT6_T7_T8_T9_T10_T11_,comdat
.Lfunc_end5:
	.size	_ZN2ck16tensor_operation6device12_GLOBAL__N_137kernel_grouped_conv_fwd_dl_multiple_dINS_32GridwiseGemmDlMultipleD_km_kn_mnILi256EDF16_fNS_5TupleIJDF16_EEEDF16_NS0_12element_wise11PassThroughES8_NS7_7AddReluELNS_25InMemoryDataOperationEnumE0ENS_16TensorDescriptorINS5_IJNS_5EmbedINS5_IJiiiiEEESD_Lb0EEENS_11PassThroughIiEENS_3PadIiiiLb0EEESI_SG_SG_NSC_INS5_IJiiEEESJ_Lb0EEESK_SG_NS_23Merge_v2_magic_divisionINS5_IJiiiEEEEESN_NS_8RightPadIiiLb0EEESP_NS_7UnMergeISJ_Lb0EEESG_EEENS5_IJNS_8SequenceIJLi0EEEENST_IJLi1EEEENST_IJLi2EEEENST_IJLi3EEEENST_IJLi4EEEENST_IJLi5EEEENST_IJLi6EEEENST_IJLi7EEEENST_IJLi8EEEENST_IJLi9ELi11ELi13EEEENST_IJLi10ELi12ELi14EEEENST_IJLi15EEEENST_IJLi16EEEENST_IJLi18EEEENST_IJLi17EEEEEEENS5_IJNST_IJLi1ELi2ELi3ELi4EEEESZ_S10_S11_S12_NST_IJLi9EEEENST_IJLi10ELi11EEEENST_IJLi12ELi13EEEENST_IJLi14EEEES15_S16_S18_S17_NST_IJLi19ELi20EEEENST_IJLi21EEEEEEENST_IJLi19ELi21ELi20EEEElEENSB_INS5_IJSR_SP_SP_SR_SG_EEENS5_IJSU_SV_SW_SY_SX_EEENS5_IJNST_IJLi1ELi2EEEESX_SY_NST_IJLi5ELi6EEEES11_EEENST_IJLi5ELi7ELi6EEEElEENSB_INS5_IJSK_SP_SP_EEENS5_IJSU_SV_SW_EEENS5_IJS1M_SX_SY_EEENST_IJLi3ELi4EEEElEELi128ELi128ELi16ELi2ELi4ELi4ELi1ENST_IJLi8ELi2EEEES1W_NST_IJLi8ELi1ELi1ELi2EEEENST_IJLi2ELi1ELi128ELi1EEEENST_IJLi1ELi2ELi0ELi3EEEES1Z_NST_IJLi4ELi1ELi1ELi2EEEES1Z_NST_IJLi1ELi1ELi1ELi2EEEES1X_S1Y_S1Z_S1Z_S20_S1Z_S21_NST_IJLi0ELi1ELi2ELi3ELi4ELi5EEEELi5ELi4EEEDF16_NS5_IJPKDF16_EEEDF16_S8_S8_S9_NSB_INS5_IJSE_SG_SI_SI_SG_SG_SK_SK_SG_SN_SN_SP_SP_SR_SG_SG_NSQ_INS5_IJiNS_17integral_constantIiLi128EEEEEELb0EEENSF_INS27_IiLi2EEEEEEEENS5_IJSU_SV_SW_SX_SY_SZ_S10_S11_S12_S13_S14_S15_S16_S17_S18_NST_IJLi19EEEES1G_NST_IJLi20EEEEEEENS5_IJS1A_SZ_S10_S11_S12_S1B_S1C_S1D_S1E_S15_S16_S18_S17_S1F_S1G_NST_IJLi22EEEENST_IJLi23ELi24EEEENST_IJLi25EEEEEEENST_IJLi22ELi23ELi24ELi25EEEElEENSB_INS5_IJSR_SP_SP_SR_SG_SG_S2A_S2C_EEENS5_IJSU_SV_SW_SY_SX_SZ_S11_S10_EEENS5_IJS1M_SX_SY_S1N_S11_S12_NST_IJLi9ELi10EEEENST_IJLi11EEEEEEENST_IJLi8ELi9ELi10ELi11EEEElEENS5_IJNSB_INS5_IJSK_SP_SP_NSQ_INS5_IJiS2B_NS27_IiLi64EEEEEELb0EEES2W_EEENS5_IJSU_SV_SW_SX_SY_EEENS5_IJS1M_SX_SY_NST_IJLi5ELi6ELi7EEEENST_IJLi8ELi9ELi10EEEEEEENST_IJLi5ELi6ELi7ELi8ELi9ELi10EEEElEEEEES33_NS_31BlockToCTileMap_M00_N00_M01_N01ILi128ELi128ES1V_Lb0EEENS1_30ComputePtrOffsetOfStridedBatchILi1ELi1ELi1EvEELb1ELb1EEEvPKT0_S3B_T1_PT2_T3_T4_T5_iT6_T7_T8_T9_T10_T11_, .Lfunc_end5-_ZN2ck16tensor_operation6device12_GLOBAL__N_137kernel_grouped_conv_fwd_dl_multiple_dINS_32GridwiseGemmDlMultipleD_km_kn_mnILi256EDF16_fNS_5TupleIJDF16_EEEDF16_NS0_12element_wise11PassThroughES8_NS7_7AddReluELNS_25InMemoryDataOperationEnumE0ENS_16TensorDescriptorINS5_IJNS_5EmbedINS5_IJiiiiEEESD_Lb0EEENS_11PassThroughIiEENS_3PadIiiiLb0EEESI_SG_SG_NSC_INS5_IJiiEEESJ_Lb0EEESK_SG_NS_23Merge_v2_magic_divisionINS5_IJiiiEEEEESN_NS_8RightPadIiiLb0EEESP_NS_7UnMergeISJ_Lb0EEESG_EEENS5_IJNS_8SequenceIJLi0EEEENST_IJLi1EEEENST_IJLi2EEEENST_IJLi3EEEENST_IJLi4EEEENST_IJLi5EEEENST_IJLi6EEEENST_IJLi7EEEENST_IJLi8EEEENST_IJLi9ELi11ELi13EEEENST_IJLi10ELi12ELi14EEEENST_IJLi15EEEENST_IJLi16EEEENST_IJLi18EEEENST_IJLi17EEEEEEENS5_IJNST_IJLi1ELi2ELi3ELi4EEEESZ_S10_S11_S12_NST_IJLi9EEEENST_IJLi10ELi11EEEENST_IJLi12ELi13EEEENST_IJLi14EEEES15_S16_S18_S17_NST_IJLi19ELi20EEEENST_IJLi21EEEEEEENST_IJLi19ELi21ELi20EEEElEENSB_INS5_IJSR_SP_SP_SR_SG_EEENS5_IJSU_SV_SW_SY_SX_EEENS5_IJNST_IJLi1ELi2EEEESX_SY_NST_IJLi5ELi6EEEES11_EEENST_IJLi5ELi7ELi6EEEElEENSB_INS5_IJSK_SP_SP_EEENS5_IJSU_SV_SW_EEENS5_IJS1M_SX_SY_EEENST_IJLi3ELi4EEEElEELi128ELi128ELi16ELi2ELi4ELi4ELi1ENST_IJLi8ELi2EEEES1W_NST_IJLi8ELi1ELi1ELi2EEEENST_IJLi2ELi1ELi128ELi1EEEENST_IJLi1ELi2ELi0ELi3EEEES1Z_NST_IJLi4ELi1ELi1ELi2EEEES1Z_NST_IJLi1ELi1ELi1ELi2EEEES1X_S1Y_S1Z_S1Z_S20_S1Z_S21_NST_IJLi0ELi1ELi2ELi3ELi4ELi5EEEELi5ELi4EEEDF16_NS5_IJPKDF16_EEEDF16_S8_S8_S9_NSB_INS5_IJSE_SG_SI_SI_SG_SG_SK_SK_SG_SN_SN_SP_SP_SR_SG_SG_NSQ_INS5_IJiNS_17integral_constantIiLi128EEEEEELb0EEENSF_INS27_IiLi2EEEEEEEENS5_IJSU_SV_SW_SX_SY_SZ_S10_S11_S12_S13_S14_S15_S16_S17_S18_NST_IJLi19EEEES1G_NST_IJLi20EEEEEEENS5_IJS1A_SZ_S10_S11_S12_S1B_S1C_S1D_S1E_S15_S16_S18_S17_S1F_S1G_NST_IJLi22EEEENST_IJLi23ELi24EEEENST_IJLi25EEEEEEENST_IJLi22ELi23ELi24ELi25EEEElEENSB_INS5_IJSR_SP_SP_SR_SG_SG_S2A_S2C_EEENS5_IJSU_SV_SW_SY_SX_SZ_S11_S10_EEENS5_IJS1M_SX_SY_S1N_S11_S12_NST_IJLi9ELi10EEEENST_IJLi11EEEEEEENST_IJLi8ELi9ELi10ELi11EEEElEENS5_IJNSB_INS5_IJSK_SP_SP_NSQ_INS5_IJiS2B_NS27_IiLi64EEEEEELb0EEES2W_EEENS5_IJSU_SV_SW_SX_SY_EEENS5_IJS1M_SX_SY_NST_IJLi5ELi6ELi7EEEENST_IJLi8ELi9ELi10EEEEEEENST_IJLi5ELi6ELi7ELi8ELi9ELi10EEEElEEEEES33_NS_31BlockToCTileMap_M00_N00_M01_N01ILi128ELi128ES1V_Lb0EEENS1_30ComputePtrOffsetOfStridedBatchILi1ELi1ELi1EvEELb1ELb1EEEvPKT0_S3B_T1_PT2_T3_T4_T5_iT6_T7_T8_T9_T10_T11_
                                        ; -- End function
	.section	.AMDGPU.csdata,"",@progbits
; Kernel info:
; codeLenInByte = 26788
; NumSgprs: 74
; NumVgprs: 178
; ScratchSize: 0
; MemoryBound: 0
; FloatMode: 240
; IeeeMode: 1
; LDSByteSize: 32768 bytes/workgroup (compile time only)
; SGPRBlocks: 9
; VGPRBlocks: 22
; NumSGPRsForWavesPerEU: 74
; NumVGPRsForWavesPerEU: 178
; Occupancy: 8
; WaveLimiterHint : 0
; COMPUTE_PGM_RSRC2:SCRATCH_EN: 0
; COMPUTE_PGM_RSRC2:USER_SGPR: 15
; COMPUTE_PGM_RSRC2:TRAP_HANDLER: 0
; COMPUTE_PGM_RSRC2:TGID_X_EN: 1
; COMPUTE_PGM_RSRC2:TGID_Y_EN: 0
; COMPUTE_PGM_RSRC2:TGID_Z_EN: 0
; COMPUTE_PGM_RSRC2:TIDIG_COMP_CNT: 0
	.section	.text._ZN2ck16tensor_operation6device12_GLOBAL__N_137kernel_grouped_conv_fwd_dl_multiple_dINS_32GridwiseGemmDlMultipleD_km_kn_mnILi256EDF16_fNS_5TupleIJDF16_EEEDF16_NS0_12element_wise11PassThroughES8_NS7_7AddReluELNS_25InMemoryDataOperationEnumE0ENS_16TensorDescriptorINS5_IJNS_5EmbedINS5_IJiiiiEEESD_Lb0EEENS_11PassThroughIiEENS_3PadIiiiLb0EEESI_SG_SG_NSC_INS5_IJiiEEESJ_Lb0EEESK_SG_NS_23Merge_v2_magic_divisionINS5_IJiiiEEEEESN_NS_8RightPadIiiLb0EEESP_NS_7UnMergeISJ_Lb0EEESG_EEENS5_IJNS_8SequenceIJLi0EEEENST_IJLi1EEEENST_IJLi2EEEENST_IJLi3EEEENST_IJLi4EEEENST_IJLi5EEEENST_IJLi6EEEENST_IJLi7EEEENST_IJLi8EEEENST_IJLi9ELi11ELi13EEEENST_IJLi10ELi12ELi14EEEENST_IJLi15EEEENST_IJLi16EEEENST_IJLi18EEEENST_IJLi17EEEEEEENS5_IJNST_IJLi1ELi2ELi3ELi4EEEESZ_S10_S11_S12_NST_IJLi9EEEENST_IJLi10ELi11EEEENST_IJLi12ELi13EEEENST_IJLi14EEEES15_S16_S18_S17_NST_IJLi19ELi20EEEENST_IJLi21EEEEEEENST_IJLi19ELi21ELi20EEEElEENSB_INS5_IJSR_SP_SP_SR_SG_EEENS5_IJSU_SV_SW_SY_SX_EEENS5_IJNST_IJLi1ELi2EEEESX_SY_NST_IJLi5ELi6EEEES11_EEENST_IJLi5ELi7ELi6EEEElEENSB_INS5_IJSK_SP_SP_EEENS5_IJSU_SV_SW_EEENS5_IJS1M_SX_SY_EEENST_IJLi3ELi4EEEElEELi128ELi128ELi16ELi2ELi4ELi4ELi1ENST_IJLi8ELi2EEEES1W_NST_IJLi8ELi1ELi1ELi2EEEENST_IJLi2ELi1ELi128ELi1EEEENST_IJLi1ELi2ELi0ELi3EEEES1Z_NST_IJLi4ELi1ELi1ELi2EEEES1Z_NST_IJLi1ELi1ELi1ELi2EEEES1X_S1Y_S1Z_S1Z_S20_S1Z_S21_NST_IJLi0ELi1ELi2ELi3ELi4ELi5EEEELi5ELi4EEEDF16_NS5_IJPKDF16_EEEDF16_S8_S8_S9_NSB_INS5_IJSE_SG_SI_SI_SG_SG_SK_SK_SG_SN_SN_SP_SP_SR_SG_SG_NSQ_INS5_IJiNS_17integral_constantIiLi128EEEEEELb0EEENSF_INS27_IiLi2EEEEEEEENS5_IJSU_SV_SW_SX_SY_SZ_S10_S11_S12_S13_S14_S15_S16_S17_S18_NST_IJLi19EEEES1G_NST_IJLi20EEEEEEENS5_IJS1A_SZ_S10_S11_S12_S1B_S1C_S1D_S1E_S15_S16_S18_S17_S1F_S1G_NST_IJLi22EEEENST_IJLi23ELi24EEEENST_IJLi25EEEEEEENST_IJLi22ELi23ELi24ELi25EEEElEENSB_INS5_IJSR_SP_SP_SR_SG_SG_S2A_S2C_EEENS5_IJSU_SV_SW_SY_SX_SZ_S11_S10_EEENS5_IJS1M_SX_SY_S1N_S11_S12_NST_IJLi9ELi10EEEENST_IJLi11EEEEEEENST_IJLi8ELi9ELi10ELi11EEEElEENS5_IJNSB_INS5_IJSK_SP_SP_NSQ_INS5_IJiS2B_NS27_IiLi64EEEEEELb0EEES2W_EEENS5_IJSU_SV_SW_SX_SY_EEENS5_IJS1M_SX_SY_NST_IJLi5ELi6ELi7EEEENST_IJLi8ELi9ELi10EEEEEEENST_IJLi5ELi6ELi7ELi8ELi9ELi10EEEElEEEEES33_NS_31BlockToCTileMap_M00_N00_M01_N01ILi128ELi128ES1V_Lb0EEENS1_30ComputePtrOffsetOfStridedBatchILi1ELi1ELi1EvEELb1ELb0EEEvPKT0_S3B_T1_PT2_T3_T4_T5_iT6_T7_T8_T9_T10_T11_,"axG",@progbits,_ZN2ck16tensor_operation6device12_GLOBAL__N_137kernel_grouped_conv_fwd_dl_multiple_dINS_32GridwiseGemmDlMultipleD_km_kn_mnILi256EDF16_fNS_5TupleIJDF16_EEEDF16_NS0_12element_wise11PassThroughES8_NS7_7AddReluELNS_25InMemoryDataOperationEnumE0ENS_16TensorDescriptorINS5_IJNS_5EmbedINS5_IJiiiiEEESD_Lb0EEENS_11PassThroughIiEENS_3PadIiiiLb0EEESI_SG_SG_NSC_INS5_IJiiEEESJ_Lb0EEESK_SG_NS_23Merge_v2_magic_divisionINS5_IJiiiEEEEESN_NS_8RightPadIiiLb0EEESP_NS_7UnMergeISJ_Lb0EEESG_EEENS5_IJNS_8SequenceIJLi0EEEENST_IJLi1EEEENST_IJLi2EEEENST_IJLi3EEEENST_IJLi4EEEENST_IJLi5EEEENST_IJLi6EEEENST_IJLi7EEEENST_IJLi8EEEENST_IJLi9ELi11ELi13EEEENST_IJLi10ELi12ELi14EEEENST_IJLi15EEEENST_IJLi16EEEENST_IJLi18EEEENST_IJLi17EEEEEEENS5_IJNST_IJLi1ELi2ELi3ELi4EEEESZ_S10_S11_S12_NST_IJLi9EEEENST_IJLi10ELi11EEEENST_IJLi12ELi13EEEENST_IJLi14EEEES15_S16_S18_S17_NST_IJLi19ELi20EEEENST_IJLi21EEEEEEENST_IJLi19ELi21ELi20EEEElEENSB_INS5_IJSR_SP_SP_SR_SG_EEENS5_IJSU_SV_SW_SY_SX_EEENS5_IJNST_IJLi1ELi2EEEESX_SY_NST_IJLi5ELi6EEEES11_EEENST_IJLi5ELi7ELi6EEEElEENSB_INS5_IJSK_SP_SP_EEENS5_IJSU_SV_SW_EEENS5_IJS1M_SX_SY_EEENST_IJLi3ELi4EEEElEELi128ELi128ELi16ELi2ELi4ELi4ELi1ENST_IJLi8ELi2EEEES1W_NST_IJLi8ELi1ELi1ELi2EEEENST_IJLi2ELi1ELi128ELi1EEEENST_IJLi1ELi2ELi0ELi3EEEES1Z_NST_IJLi4ELi1ELi1ELi2EEEES1Z_NST_IJLi1ELi1ELi1ELi2EEEES1X_S1Y_S1Z_S1Z_S20_S1Z_S21_NST_IJLi0ELi1ELi2ELi3ELi4ELi5EEEELi5ELi4EEEDF16_NS5_IJPKDF16_EEEDF16_S8_S8_S9_NSB_INS5_IJSE_SG_SI_SI_SG_SG_SK_SK_SG_SN_SN_SP_SP_SR_SG_SG_NSQ_INS5_IJiNS_17integral_constantIiLi128EEEEEELb0EEENSF_INS27_IiLi2EEEEEEEENS5_IJSU_SV_SW_SX_SY_SZ_S10_S11_S12_S13_S14_S15_S16_S17_S18_NST_IJLi19EEEES1G_NST_IJLi20EEEEEEENS5_IJS1A_SZ_S10_S11_S12_S1B_S1C_S1D_S1E_S15_S16_S18_S17_S1F_S1G_NST_IJLi22EEEENST_IJLi23ELi24EEEENST_IJLi25EEEEEEENST_IJLi22ELi23ELi24ELi25EEEElEENSB_INS5_IJSR_SP_SP_SR_SG_SG_S2A_S2C_EEENS5_IJSU_SV_SW_SY_SX_SZ_S11_S10_EEENS5_IJS1M_SX_SY_S1N_S11_S12_NST_IJLi9ELi10EEEENST_IJLi11EEEEEEENST_IJLi8ELi9ELi10ELi11EEEElEENS5_IJNSB_INS5_IJSK_SP_SP_NSQ_INS5_IJiS2B_NS27_IiLi64EEEEEELb0EEES2W_EEENS5_IJSU_SV_SW_SX_SY_EEENS5_IJS1M_SX_SY_NST_IJLi5ELi6ELi7EEEENST_IJLi8ELi9ELi10EEEEEEENST_IJLi5ELi6ELi7ELi8ELi9ELi10EEEElEEEEES33_NS_31BlockToCTileMap_M00_N00_M01_N01ILi128ELi128ES1V_Lb0EEENS1_30ComputePtrOffsetOfStridedBatchILi1ELi1ELi1EvEELb1ELb0EEEvPKT0_S3B_T1_PT2_T3_T4_T5_iT6_T7_T8_T9_T10_T11_,comdat
	.globl	_ZN2ck16tensor_operation6device12_GLOBAL__N_137kernel_grouped_conv_fwd_dl_multiple_dINS_32GridwiseGemmDlMultipleD_km_kn_mnILi256EDF16_fNS_5TupleIJDF16_EEEDF16_NS0_12element_wise11PassThroughES8_NS7_7AddReluELNS_25InMemoryDataOperationEnumE0ENS_16TensorDescriptorINS5_IJNS_5EmbedINS5_IJiiiiEEESD_Lb0EEENS_11PassThroughIiEENS_3PadIiiiLb0EEESI_SG_SG_NSC_INS5_IJiiEEESJ_Lb0EEESK_SG_NS_23Merge_v2_magic_divisionINS5_IJiiiEEEEESN_NS_8RightPadIiiLb0EEESP_NS_7UnMergeISJ_Lb0EEESG_EEENS5_IJNS_8SequenceIJLi0EEEENST_IJLi1EEEENST_IJLi2EEEENST_IJLi3EEEENST_IJLi4EEEENST_IJLi5EEEENST_IJLi6EEEENST_IJLi7EEEENST_IJLi8EEEENST_IJLi9ELi11ELi13EEEENST_IJLi10ELi12ELi14EEEENST_IJLi15EEEENST_IJLi16EEEENST_IJLi18EEEENST_IJLi17EEEEEEENS5_IJNST_IJLi1ELi2ELi3ELi4EEEESZ_S10_S11_S12_NST_IJLi9EEEENST_IJLi10ELi11EEEENST_IJLi12ELi13EEEENST_IJLi14EEEES15_S16_S18_S17_NST_IJLi19ELi20EEEENST_IJLi21EEEEEEENST_IJLi19ELi21ELi20EEEElEENSB_INS5_IJSR_SP_SP_SR_SG_EEENS5_IJSU_SV_SW_SY_SX_EEENS5_IJNST_IJLi1ELi2EEEESX_SY_NST_IJLi5ELi6EEEES11_EEENST_IJLi5ELi7ELi6EEEElEENSB_INS5_IJSK_SP_SP_EEENS5_IJSU_SV_SW_EEENS5_IJS1M_SX_SY_EEENST_IJLi3ELi4EEEElEELi128ELi128ELi16ELi2ELi4ELi4ELi1ENST_IJLi8ELi2EEEES1W_NST_IJLi8ELi1ELi1ELi2EEEENST_IJLi2ELi1ELi128ELi1EEEENST_IJLi1ELi2ELi0ELi3EEEES1Z_NST_IJLi4ELi1ELi1ELi2EEEES1Z_NST_IJLi1ELi1ELi1ELi2EEEES1X_S1Y_S1Z_S1Z_S20_S1Z_S21_NST_IJLi0ELi1ELi2ELi3ELi4ELi5EEEELi5ELi4EEEDF16_NS5_IJPKDF16_EEEDF16_S8_S8_S9_NSB_INS5_IJSE_SG_SI_SI_SG_SG_SK_SK_SG_SN_SN_SP_SP_SR_SG_SG_NSQ_INS5_IJiNS_17integral_constantIiLi128EEEEEELb0EEENSF_INS27_IiLi2EEEEEEEENS5_IJSU_SV_SW_SX_SY_SZ_S10_S11_S12_S13_S14_S15_S16_S17_S18_NST_IJLi19EEEES1G_NST_IJLi20EEEEEEENS5_IJS1A_SZ_S10_S11_S12_S1B_S1C_S1D_S1E_S15_S16_S18_S17_S1F_S1G_NST_IJLi22EEEENST_IJLi23ELi24EEEENST_IJLi25EEEEEEENST_IJLi22ELi23ELi24ELi25EEEElEENSB_INS5_IJSR_SP_SP_SR_SG_SG_S2A_S2C_EEENS5_IJSU_SV_SW_SY_SX_SZ_S11_S10_EEENS5_IJS1M_SX_SY_S1N_S11_S12_NST_IJLi9ELi10EEEENST_IJLi11EEEEEEENST_IJLi8ELi9ELi10ELi11EEEElEENS5_IJNSB_INS5_IJSK_SP_SP_NSQ_INS5_IJiS2B_NS27_IiLi64EEEEEELb0EEES2W_EEENS5_IJSU_SV_SW_SX_SY_EEENS5_IJS1M_SX_SY_NST_IJLi5ELi6ELi7EEEENST_IJLi8ELi9ELi10EEEEEEENST_IJLi5ELi6ELi7ELi8ELi9ELi10EEEElEEEEES33_NS_31BlockToCTileMap_M00_N00_M01_N01ILi128ELi128ES1V_Lb0EEENS1_30ComputePtrOffsetOfStridedBatchILi1ELi1ELi1EvEELb1ELb0EEEvPKT0_S3B_T1_PT2_T3_T4_T5_iT6_T7_T8_T9_T10_T11_ ; -- Begin function _ZN2ck16tensor_operation6device12_GLOBAL__N_137kernel_grouped_conv_fwd_dl_multiple_dINS_32GridwiseGemmDlMultipleD_km_kn_mnILi256EDF16_fNS_5TupleIJDF16_EEEDF16_NS0_12element_wise11PassThroughES8_NS7_7AddReluELNS_25InMemoryDataOperationEnumE0ENS_16TensorDescriptorINS5_IJNS_5EmbedINS5_IJiiiiEEESD_Lb0EEENS_11PassThroughIiEENS_3PadIiiiLb0EEESI_SG_SG_NSC_INS5_IJiiEEESJ_Lb0EEESK_SG_NS_23Merge_v2_magic_divisionINS5_IJiiiEEEEESN_NS_8RightPadIiiLb0EEESP_NS_7UnMergeISJ_Lb0EEESG_EEENS5_IJNS_8SequenceIJLi0EEEENST_IJLi1EEEENST_IJLi2EEEENST_IJLi3EEEENST_IJLi4EEEENST_IJLi5EEEENST_IJLi6EEEENST_IJLi7EEEENST_IJLi8EEEENST_IJLi9ELi11ELi13EEEENST_IJLi10ELi12ELi14EEEENST_IJLi15EEEENST_IJLi16EEEENST_IJLi18EEEENST_IJLi17EEEEEEENS5_IJNST_IJLi1ELi2ELi3ELi4EEEESZ_S10_S11_S12_NST_IJLi9EEEENST_IJLi10ELi11EEEENST_IJLi12ELi13EEEENST_IJLi14EEEES15_S16_S18_S17_NST_IJLi19ELi20EEEENST_IJLi21EEEEEEENST_IJLi19ELi21ELi20EEEElEENSB_INS5_IJSR_SP_SP_SR_SG_EEENS5_IJSU_SV_SW_SY_SX_EEENS5_IJNST_IJLi1ELi2EEEESX_SY_NST_IJLi5ELi6EEEES11_EEENST_IJLi5ELi7ELi6EEEElEENSB_INS5_IJSK_SP_SP_EEENS5_IJSU_SV_SW_EEENS5_IJS1M_SX_SY_EEENST_IJLi3ELi4EEEElEELi128ELi128ELi16ELi2ELi4ELi4ELi1ENST_IJLi8ELi2EEEES1W_NST_IJLi8ELi1ELi1ELi2EEEENST_IJLi2ELi1ELi128ELi1EEEENST_IJLi1ELi2ELi0ELi3EEEES1Z_NST_IJLi4ELi1ELi1ELi2EEEES1Z_NST_IJLi1ELi1ELi1ELi2EEEES1X_S1Y_S1Z_S1Z_S20_S1Z_S21_NST_IJLi0ELi1ELi2ELi3ELi4ELi5EEEELi5ELi4EEEDF16_NS5_IJPKDF16_EEEDF16_S8_S8_S9_NSB_INS5_IJSE_SG_SI_SI_SG_SG_SK_SK_SG_SN_SN_SP_SP_SR_SG_SG_NSQ_INS5_IJiNS_17integral_constantIiLi128EEEEEELb0EEENSF_INS27_IiLi2EEEEEEEENS5_IJSU_SV_SW_SX_SY_SZ_S10_S11_S12_S13_S14_S15_S16_S17_S18_NST_IJLi19EEEES1G_NST_IJLi20EEEEEEENS5_IJS1A_SZ_S10_S11_S12_S1B_S1C_S1D_S1E_S15_S16_S18_S17_S1F_S1G_NST_IJLi22EEEENST_IJLi23ELi24EEEENST_IJLi25EEEEEEENST_IJLi22ELi23ELi24ELi25EEEElEENSB_INS5_IJSR_SP_SP_SR_SG_SG_S2A_S2C_EEENS5_IJSU_SV_SW_SY_SX_SZ_S11_S10_EEENS5_IJS1M_SX_SY_S1N_S11_S12_NST_IJLi9ELi10EEEENST_IJLi11EEEEEEENST_IJLi8ELi9ELi10ELi11EEEElEENS5_IJNSB_INS5_IJSK_SP_SP_NSQ_INS5_IJiS2B_NS27_IiLi64EEEEEELb0EEES2W_EEENS5_IJSU_SV_SW_SX_SY_EEENS5_IJS1M_SX_SY_NST_IJLi5ELi6ELi7EEEENST_IJLi8ELi9ELi10EEEEEEENST_IJLi5ELi6ELi7ELi8ELi9ELi10EEEElEEEEES33_NS_31BlockToCTileMap_M00_N00_M01_N01ILi128ELi128ES1V_Lb0EEENS1_30ComputePtrOffsetOfStridedBatchILi1ELi1ELi1EvEELb1ELb0EEEvPKT0_S3B_T1_PT2_T3_T4_T5_iT6_T7_T8_T9_T10_T11_
	.p2align	8
	.type	_ZN2ck16tensor_operation6device12_GLOBAL__N_137kernel_grouped_conv_fwd_dl_multiple_dINS_32GridwiseGemmDlMultipleD_km_kn_mnILi256EDF16_fNS_5TupleIJDF16_EEEDF16_NS0_12element_wise11PassThroughES8_NS7_7AddReluELNS_25InMemoryDataOperationEnumE0ENS_16TensorDescriptorINS5_IJNS_5EmbedINS5_IJiiiiEEESD_Lb0EEENS_11PassThroughIiEENS_3PadIiiiLb0EEESI_SG_SG_NSC_INS5_IJiiEEESJ_Lb0EEESK_SG_NS_23Merge_v2_magic_divisionINS5_IJiiiEEEEESN_NS_8RightPadIiiLb0EEESP_NS_7UnMergeISJ_Lb0EEESG_EEENS5_IJNS_8SequenceIJLi0EEEENST_IJLi1EEEENST_IJLi2EEEENST_IJLi3EEEENST_IJLi4EEEENST_IJLi5EEEENST_IJLi6EEEENST_IJLi7EEEENST_IJLi8EEEENST_IJLi9ELi11ELi13EEEENST_IJLi10ELi12ELi14EEEENST_IJLi15EEEENST_IJLi16EEEENST_IJLi18EEEENST_IJLi17EEEEEEENS5_IJNST_IJLi1ELi2ELi3ELi4EEEESZ_S10_S11_S12_NST_IJLi9EEEENST_IJLi10ELi11EEEENST_IJLi12ELi13EEEENST_IJLi14EEEES15_S16_S18_S17_NST_IJLi19ELi20EEEENST_IJLi21EEEEEEENST_IJLi19ELi21ELi20EEEElEENSB_INS5_IJSR_SP_SP_SR_SG_EEENS5_IJSU_SV_SW_SY_SX_EEENS5_IJNST_IJLi1ELi2EEEESX_SY_NST_IJLi5ELi6EEEES11_EEENST_IJLi5ELi7ELi6EEEElEENSB_INS5_IJSK_SP_SP_EEENS5_IJSU_SV_SW_EEENS5_IJS1M_SX_SY_EEENST_IJLi3ELi4EEEElEELi128ELi128ELi16ELi2ELi4ELi4ELi1ENST_IJLi8ELi2EEEES1W_NST_IJLi8ELi1ELi1ELi2EEEENST_IJLi2ELi1ELi128ELi1EEEENST_IJLi1ELi2ELi0ELi3EEEES1Z_NST_IJLi4ELi1ELi1ELi2EEEES1Z_NST_IJLi1ELi1ELi1ELi2EEEES1X_S1Y_S1Z_S1Z_S20_S1Z_S21_NST_IJLi0ELi1ELi2ELi3ELi4ELi5EEEELi5ELi4EEEDF16_NS5_IJPKDF16_EEEDF16_S8_S8_S9_NSB_INS5_IJSE_SG_SI_SI_SG_SG_SK_SK_SG_SN_SN_SP_SP_SR_SG_SG_NSQ_INS5_IJiNS_17integral_constantIiLi128EEEEEELb0EEENSF_INS27_IiLi2EEEEEEEENS5_IJSU_SV_SW_SX_SY_SZ_S10_S11_S12_S13_S14_S15_S16_S17_S18_NST_IJLi19EEEES1G_NST_IJLi20EEEEEEENS5_IJS1A_SZ_S10_S11_S12_S1B_S1C_S1D_S1E_S15_S16_S18_S17_S1F_S1G_NST_IJLi22EEEENST_IJLi23ELi24EEEENST_IJLi25EEEEEEENST_IJLi22ELi23ELi24ELi25EEEElEENSB_INS5_IJSR_SP_SP_SR_SG_SG_S2A_S2C_EEENS5_IJSU_SV_SW_SY_SX_SZ_S11_S10_EEENS5_IJS1M_SX_SY_S1N_S11_S12_NST_IJLi9ELi10EEEENST_IJLi11EEEEEEENST_IJLi8ELi9ELi10ELi11EEEElEENS5_IJNSB_INS5_IJSK_SP_SP_NSQ_INS5_IJiS2B_NS27_IiLi64EEEEEELb0EEES2W_EEENS5_IJSU_SV_SW_SX_SY_EEENS5_IJS1M_SX_SY_NST_IJLi5ELi6ELi7EEEENST_IJLi8ELi9ELi10EEEEEEENST_IJLi5ELi6ELi7ELi8ELi9ELi10EEEElEEEEES33_NS_31BlockToCTileMap_M00_N00_M01_N01ILi128ELi128ES1V_Lb0EEENS1_30ComputePtrOffsetOfStridedBatchILi1ELi1ELi1EvEELb1ELb0EEEvPKT0_S3B_T1_PT2_T3_T4_T5_iT6_T7_T8_T9_T10_T11_,@function
_ZN2ck16tensor_operation6device12_GLOBAL__N_137kernel_grouped_conv_fwd_dl_multiple_dINS_32GridwiseGemmDlMultipleD_km_kn_mnILi256EDF16_fNS_5TupleIJDF16_EEEDF16_NS0_12element_wise11PassThroughES8_NS7_7AddReluELNS_25InMemoryDataOperationEnumE0ENS_16TensorDescriptorINS5_IJNS_5EmbedINS5_IJiiiiEEESD_Lb0EEENS_11PassThroughIiEENS_3PadIiiiLb0EEESI_SG_SG_NSC_INS5_IJiiEEESJ_Lb0EEESK_SG_NS_23Merge_v2_magic_divisionINS5_IJiiiEEEEESN_NS_8RightPadIiiLb0EEESP_NS_7UnMergeISJ_Lb0EEESG_EEENS5_IJNS_8SequenceIJLi0EEEENST_IJLi1EEEENST_IJLi2EEEENST_IJLi3EEEENST_IJLi4EEEENST_IJLi5EEEENST_IJLi6EEEENST_IJLi7EEEENST_IJLi8EEEENST_IJLi9ELi11ELi13EEEENST_IJLi10ELi12ELi14EEEENST_IJLi15EEEENST_IJLi16EEEENST_IJLi18EEEENST_IJLi17EEEEEEENS5_IJNST_IJLi1ELi2ELi3ELi4EEEESZ_S10_S11_S12_NST_IJLi9EEEENST_IJLi10ELi11EEEENST_IJLi12ELi13EEEENST_IJLi14EEEES15_S16_S18_S17_NST_IJLi19ELi20EEEENST_IJLi21EEEEEEENST_IJLi19ELi21ELi20EEEElEENSB_INS5_IJSR_SP_SP_SR_SG_EEENS5_IJSU_SV_SW_SY_SX_EEENS5_IJNST_IJLi1ELi2EEEESX_SY_NST_IJLi5ELi6EEEES11_EEENST_IJLi5ELi7ELi6EEEElEENSB_INS5_IJSK_SP_SP_EEENS5_IJSU_SV_SW_EEENS5_IJS1M_SX_SY_EEENST_IJLi3ELi4EEEElEELi128ELi128ELi16ELi2ELi4ELi4ELi1ENST_IJLi8ELi2EEEES1W_NST_IJLi8ELi1ELi1ELi2EEEENST_IJLi2ELi1ELi128ELi1EEEENST_IJLi1ELi2ELi0ELi3EEEES1Z_NST_IJLi4ELi1ELi1ELi2EEEES1Z_NST_IJLi1ELi1ELi1ELi2EEEES1X_S1Y_S1Z_S1Z_S20_S1Z_S21_NST_IJLi0ELi1ELi2ELi3ELi4ELi5EEEELi5ELi4EEEDF16_NS5_IJPKDF16_EEEDF16_S8_S8_S9_NSB_INS5_IJSE_SG_SI_SI_SG_SG_SK_SK_SG_SN_SN_SP_SP_SR_SG_SG_NSQ_INS5_IJiNS_17integral_constantIiLi128EEEEEELb0EEENSF_INS27_IiLi2EEEEEEEENS5_IJSU_SV_SW_SX_SY_SZ_S10_S11_S12_S13_S14_S15_S16_S17_S18_NST_IJLi19EEEES1G_NST_IJLi20EEEEEEENS5_IJS1A_SZ_S10_S11_S12_S1B_S1C_S1D_S1E_S15_S16_S18_S17_S1F_S1G_NST_IJLi22EEEENST_IJLi23ELi24EEEENST_IJLi25EEEEEEENST_IJLi22ELi23ELi24ELi25EEEElEENSB_INS5_IJSR_SP_SP_SR_SG_SG_S2A_S2C_EEENS5_IJSU_SV_SW_SY_SX_SZ_S11_S10_EEENS5_IJS1M_SX_SY_S1N_S11_S12_NST_IJLi9ELi10EEEENST_IJLi11EEEEEEENST_IJLi8ELi9ELi10ELi11EEEElEENS5_IJNSB_INS5_IJSK_SP_SP_NSQ_INS5_IJiS2B_NS27_IiLi64EEEEEELb0EEES2W_EEENS5_IJSU_SV_SW_SX_SY_EEENS5_IJS1M_SX_SY_NST_IJLi5ELi6ELi7EEEENST_IJLi8ELi9ELi10EEEEEEENST_IJLi5ELi6ELi7ELi8ELi9ELi10EEEElEEEEES33_NS_31BlockToCTileMap_M00_N00_M01_N01ILi128ELi128ES1V_Lb0EEENS1_30ComputePtrOffsetOfStridedBatchILi1ELi1ELi1EvEELb1ELb0EEEvPKT0_S3B_T1_PT2_T3_T4_T5_iT6_T7_T8_T9_T10_T11_: ; @_ZN2ck16tensor_operation6device12_GLOBAL__N_137kernel_grouped_conv_fwd_dl_multiple_dINS_32GridwiseGemmDlMultipleD_km_kn_mnILi256EDF16_fNS_5TupleIJDF16_EEEDF16_NS0_12element_wise11PassThroughES8_NS7_7AddReluELNS_25InMemoryDataOperationEnumE0ENS_16TensorDescriptorINS5_IJNS_5EmbedINS5_IJiiiiEEESD_Lb0EEENS_11PassThroughIiEENS_3PadIiiiLb0EEESI_SG_SG_NSC_INS5_IJiiEEESJ_Lb0EEESK_SG_NS_23Merge_v2_magic_divisionINS5_IJiiiEEEEESN_NS_8RightPadIiiLb0EEESP_NS_7UnMergeISJ_Lb0EEESG_EEENS5_IJNS_8SequenceIJLi0EEEENST_IJLi1EEEENST_IJLi2EEEENST_IJLi3EEEENST_IJLi4EEEENST_IJLi5EEEENST_IJLi6EEEENST_IJLi7EEEENST_IJLi8EEEENST_IJLi9ELi11ELi13EEEENST_IJLi10ELi12ELi14EEEENST_IJLi15EEEENST_IJLi16EEEENST_IJLi18EEEENST_IJLi17EEEEEEENS5_IJNST_IJLi1ELi2ELi3ELi4EEEESZ_S10_S11_S12_NST_IJLi9EEEENST_IJLi10ELi11EEEENST_IJLi12ELi13EEEENST_IJLi14EEEES15_S16_S18_S17_NST_IJLi19ELi20EEEENST_IJLi21EEEEEEENST_IJLi19ELi21ELi20EEEElEENSB_INS5_IJSR_SP_SP_SR_SG_EEENS5_IJSU_SV_SW_SY_SX_EEENS5_IJNST_IJLi1ELi2EEEESX_SY_NST_IJLi5ELi6EEEES11_EEENST_IJLi5ELi7ELi6EEEElEENSB_INS5_IJSK_SP_SP_EEENS5_IJSU_SV_SW_EEENS5_IJS1M_SX_SY_EEENST_IJLi3ELi4EEEElEELi128ELi128ELi16ELi2ELi4ELi4ELi1ENST_IJLi8ELi2EEEES1W_NST_IJLi8ELi1ELi1ELi2EEEENST_IJLi2ELi1ELi128ELi1EEEENST_IJLi1ELi2ELi0ELi3EEEES1Z_NST_IJLi4ELi1ELi1ELi2EEEES1Z_NST_IJLi1ELi1ELi1ELi2EEEES1X_S1Y_S1Z_S1Z_S20_S1Z_S21_NST_IJLi0ELi1ELi2ELi3ELi4ELi5EEEELi5ELi4EEEDF16_NS5_IJPKDF16_EEEDF16_S8_S8_S9_NSB_INS5_IJSE_SG_SI_SI_SG_SG_SK_SK_SG_SN_SN_SP_SP_SR_SG_SG_NSQ_INS5_IJiNS_17integral_constantIiLi128EEEEEELb0EEENSF_INS27_IiLi2EEEEEEEENS5_IJSU_SV_SW_SX_SY_SZ_S10_S11_S12_S13_S14_S15_S16_S17_S18_NST_IJLi19EEEES1G_NST_IJLi20EEEEEEENS5_IJS1A_SZ_S10_S11_S12_S1B_S1C_S1D_S1E_S15_S16_S18_S17_S1F_S1G_NST_IJLi22EEEENST_IJLi23ELi24EEEENST_IJLi25EEEEEEENST_IJLi22ELi23ELi24ELi25EEEElEENSB_INS5_IJSR_SP_SP_SR_SG_SG_S2A_S2C_EEENS5_IJSU_SV_SW_SY_SX_SZ_S11_S10_EEENS5_IJS1M_SX_SY_S1N_S11_S12_NST_IJLi9ELi10EEEENST_IJLi11EEEEEEENST_IJLi8ELi9ELi10ELi11EEEElEENS5_IJNSB_INS5_IJSK_SP_SP_NSQ_INS5_IJiS2B_NS27_IiLi64EEEEEELb0EEES2W_EEENS5_IJSU_SV_SW_SX_SY_EEENS5_IJS1M_SX_SY_NST_IJLi5ELi6ELi7EEEENST_IJLi8ELi9ELi10EEEEEEENST_IJLi5ELi6ELi7ELi8ELi9ELi10EEEElEEEEES33_NS_31BlockToCTileMap_M00_N00_M01_N01ILi128ELi128ES1V_Lb0EEENS1_30ComputePtrOffsetOfStridedBatchILi1ELi1ELi1EvEELb1ELb0EEEvPKT0_S3B_T1_PT2_T3_T4_T5_iT6_T7_T8_T9_T10_T11_
; %bb.0:
	s_clause 0x5
	s_load_b32 s2, s[0:1], 0x24
	s_load_b128 s[24:27], s[0:1], 0x38
	s_load_b32 s4, s[0:1], 0x2c8
	s_load_b256 s[16:23], s[0:1], 0x2a0
	s_load_b32 s33, s[0:1], 0x244
	s_load_b64 s[50:51], s[0:1], 0xd4
	v_lshrrev_b32_e32 v8, 1, v0
	v_mov_b32_e32 v45, 0
	v_mov_b32_e32 v77, 0
	v_dual_mov_b32 v25, 0 :: v_dual_mov_b32 v16, 0
	v_dual_mov_b32 v51, 0 :: v_dual_mov_b32 v62, 0
	;; [unrolled: 1-line block ×6, first 2 shown]
	s_waitcnt lgkmcnt(0)
	s_abs_i32 s3, s2
	s_abs_i32 s7, s4
	v_cvt_f32_u32_e32 v1, s3
	s_sub_i32 s6, 0, s3
	s_xor_b32 s2, s4, s2
	v_dual_mov_b32 v59, 0 :: v_dual_mov_b32 v36, 0
	s_delay_alu instid0(VALU_DEP_2)
	v_rcp_iflag_f32_e32 v1, v1
	s_ashr_i32 s2, s2, 31
	v_dual_mov_b32 v19, 0 :: v_dual_mov_b32 v68, 0
	v_dual_mov_b32 v61, 0 :: v_dual_mov_b32 v38, 0
	;; [unrolled: 1-line block ×4, first 2 shown]
	s_waitcnt_depctr 0xfff
	v_mul_f32_e32 v1, 0x4f7ffffe, v1
	v_dual_mov_b32 v35, 0 :: v_dual_mov_b32 v72, 0
	v_dual_mov_b32 v65, 0 :: v_dual_mov_b32 v40, 0
	s_delay_alu instid0(VALU_DEP_3) | instskip(SKIP_2) | instid1(VALU_DEP_3)
	v_cvt_u32_f32_e32 v1, v1
	v_dual_mov_b32 v31, 0 :: v_dual_mov_b32 v74, 0
	v_dual_mov_b32 v67, 0 :: v_dual_mov_b32 v44, 0
	v_readfirstlane_b32 s5, v1
	v_dual_mov_b32 v37, 0 :: v_dual_mov_b32 v76, 0
	v_dual_mov_b32 v69, 0 :: v_dual_mov_b32 v50, 0
	s_delay_alu instid0(VALU_DEP_3)
	s_mul_i32 s6, s6, s5
	v_dual_mov_b32 v39, 0 :: v_dual_mov_b32 v78, 0
	s_mul_hi_u32 s6, s5, s6
	v_dual_mov_b32 v71, 0 :: v_dual_mov_b32 v54, 0
	s_add_i32 s5, s5, s6
	v_dual_mov_b32 v43, 0 :: v_dual_mov_b32 v32, 0
	s_mul_hi_u32 s5, s7, s5
	v_dual_mov_b32 v73, 0 :: v_dual_mov_b32 v56, 0
	s_mul_i32 s4, s5, s3
	s_add_i32 s6, s5, 1
	s_sub_i32 s4, s7, s4
	v_dual_mov_b32 v41, 0 :: v_dual_mov_b32 v28, 0
	s_sub_i32 s7, s4, s3
	s_cmp_ge_u32 s4, s3
	s_mov_b32 s64, 0
	s_cselect_b32 s5, s6, s5
	s_cselect_b32 s4, s7, s4
	s_add_i32 s6, s5, 1
	s_cmp_ge_u32 s4, s3
	v_mov_b32_e32 v46, 0
	s_cselect_b32 s3, s6, s5
	s_abs_i32 s28, s15
	s_xor_b32 s3, s3, s2
	s_clause 0x1
	s_load_b128 s[4:7], s[0:1], 0x0
	s_load_b64 s[44:45], s[0:1], 0x18
	s_sub_i32 s8, s3, s2
	s_clause 0x2
	s_load_b64 s[2:3], s[0:1], 0xac
	s_load_b64 s[46:47], s[0:1], 0xbc
	;; [unrolled: 1-line block ×3, first 2 shown]
	s_abs_i32 s9, s8
	s_xor_b32 s8, s15, s8
	v_cvt_f32_u32_e32 v1, s9
	s_sub_i32 s11, 0, s9
	s_ashr_i32 s29, s8, 31
	s_clause 0x5
	s_load_b32 s65, s[0:1], 0x100
	s_load_b32 s66, s[0:1], 0x10c
	;; [unrolled: 1-line block ×6, first 2 shown]
	v_mov_b32_e32 v26, 0
	v_rcp_iflag_f32_e32 v1, v1
	v_mov_b32_e32 v48, 0
	v_mov_b32_e32 v24, 0
	v_dual_mov_b32 v52, 0 :: v_dual_mov_b32 v27, 0
	v_mov_b32_e32 v20, 0
	v_mov_b32_e32 v22, 0
	;; [unrolled: 1-line block ×4, first 2 shown]
	s_delay_alu instid0(TRANS32_DEP_1) | instskip(SKIP_1) | instid1(VALU_DEP_2)
	v_dual_mov_b32 v60, 0 :: v_dual_mul_f32 v1, 0x4f7ffffe, v1
	v_mov_b32_e32 v47, 0
	v_cvt_u32_f32_e32 v1, v1
	s_delay_alu instid0(VALU_DEP_1) | instskip(SKIP_1) | instid1(VALU_DEP_2)
	v_readfirstlane_b32 s10, v1
	v_lshlrev_b32_e32 v1, 3, v0
	s_mul_i32 s11, s11, s10
	s_delay_alu instid0(VALU_DEP_1) | instskip(SKIP_1) | instid1(SALU_CYCLE_1)
	v_and_b32_e32 v7, 8, v1
	s_mul_hi_u32 s11, s10, s11
	s_add_i32 s10, s10, s11
	s_delay_alu instid0(SALU_CYCLE_1) | instskip(NEXT) | instid1(VALU_DEP_1)
	s_mul_hi_u32 s10, s28, s10
	v_or_b32_e32 v1, 4, v7
	s_mul_i32 s11, s10, s9
	s_waitcnt lgkmcnt(0)
	v_mul_lo_u32 v15, s65, v7
	s_sub_i32 s8, s28, s11
	s_add_i32 s11, s10, 1
	s_sub_i32 s28, s8, s9
	s_cmp_ge_u32 s8, s9
	v_mul_lo_u32 v2, s65, v1
	s_cselect_b32 s10, s11, s10
	s_cselect_b32 s8, s28, s8
	s_add_i32 s11, s10, 1
	s_cmp_ge_u32 s8, s9
	v_mul_hi_u32 v1, v15, s49
	s_cselect_b32 s8, s11, s10
	v_or_b32_e32 v14, 36, v7
	s_xor_b32 s28, s8, s29
	s_clause 0x1
	s_load_b128 s[36:39], s[0:1], 0x274
	s_load_b128 s[8:11], s[0:1], 0x288
	s_sub_i32 s62, s28, s29
	v_mul_hi_u32 v3, v2, s49
	s_ashr_i32 s63, s62, 31
	s_mul_hi_u32 s29, s16, s62
	s_mul_i32 s28, s16, s62
	s_mul_i32 s16, s16, s63
	;; [unrolled: 1-line block ×3, first 2 shown]
	s_add_i32 s16, s29, s16
	s_mul_hi_u32 s31, s18, s62
	s_mul_i32 s30, s18, s62
	s_mul_hi_u32 s34, s22, s62
	s_mul_i32 s18, s18, s63
	s_mul_i32 s35, s22, s63
	s_add_i32 s29, s16, s17
	s_mul_i32 s19, s19, s62
	s_mul_i32 s23, s23, s62
	s_add_i32 s18, s31, s18
	s_add_i32 s34, s34, s35
	s_lshl_b64 s[16:17], s[28:29], 1
	s_add_i32 s31, s18, s19
	s_add_i32 s23, s34, s23
	s_add_u32 s16, s4, s16
	s_addc_u32 s17, s5, s17
	s_lshl_b64 s[4:5], s[30:31], 1
	s_waitcnt lgkmcnt(0)
	s_mul_hi_u32 s18, s39, s15
	s_add_u32 s28, s6, s4
	s_addc_u32 s29, s7, s5
	s_add_i32 s18, s15, s18
	s_load_b128 s[4:7], s[0:1], 0x260
	s_lshr_b32 s18, s18, s11
	s_load_b32 s31, s[0:1], 0x254
	s_mul_hi_u32 s11, s18, s38
	v_add_nc_u32_e32 v1, v15, v1
	s_add_i32 s11, s18, s11
	v_add_nc_u32_e32 v3, v2, v3
	s_lshr_b32 s30, s11, s10
	s_mov_b32 s19, 0x31004000
	s_mul_hi_u32 s10, s30, s37
	s_lshl_b32 s67, s65, 2
	s_add_i32 s10, s30, s10
	s_mul_i32 s22, s22, s62
	s_lshr_b32 s34, s10, s9
	s_delay_alu instid0(SALU_CYCLE_1) | instskip(NEXT) | instid1(SALU_CYCLE_1)
	s_mul_hi_u32 s9, s34, s36
	s_add_i32 s9, s34, s9
	s_delay_alu instid0(SALU_CYCLE_1)
	s_lshr_b32 s8, s9, s8
	s_waitcnt lgkmcnt(0)
	s_mul_i32 s8, s8, s4
	s_mul_i32 s4, s30, s6
	s_sub_i32 s6, s34, s8
	s_sub_i32 s59, s18, s4
	s_mul_i32 s6, s6, s33
	s_clause 0x2
	s_load_b64 s[52:53], s[0:1], 0x74
	s_load_b64 s[54:55], s[0:1], 0x84
	;; [unrolled: 1-line block ×3, first 2 shown]
	s_add_i32 s59, s59, s6
	s_clause 0x1
	s_load_b32 s6, s[0:1], 0x160
	s_load_b64 s[10:11], s[0:1], 0xa0
	v_lshl_or_b32 v91, s59, 7, v8
	v_lshrrev_b32_e32 v1, s51, v1
	v_lshrrev_b32_e32 v3, s51, v3
	s_clause 0x1
	s_load_b128 s[36:39], s[0:1], 0x4c
	s_load_b64 s[56:57], s[0:1], 0x5c
	s_mul_i32 s34, s34, s5
	s_mul_i32 s18, s18, s7
	v_mul_hi_u32 v4, v1, s48
	v_mul_hi_u32 v5, v3, s48
	v_mul_lo_u32 v9, v1, s47
	v_mul_lo_u32 v10, v3, s47
	s_sub_i32 s60, s15, s18
	s_lshl_b32 s18, s13, 1
	s_mul_i32 s7, s65, 12
	s_delay_alu instid0(VALU_DEP_4) | instskip(NEXT) | instid1(VALU_DEP_4)
	v_add_nc_u32_e32 v4, v1, v4
	v_add_nc_u32_e32 v5, v3, v5
	s_add_i32 s67, s67, s7
	s_delay_alu instid0(VALU_DEP_3)
	v_sub_nc_u32_e32 v93, v2, v10
	s_waitcnt lgkmcnt(0)
	v_mul_lo_u32 v114, s6, v7
	v_mul_hi_u32 v6, v91, s11
	v_lshrrev_b32_e32 v4, s50, v4
	v_lshrrev_b32_e32 v92, s50, v5
	v_sub_nc_u32_e32 v5, v15, v9
	s_sub_i32 s39, s39, s57
	s_lshl_b32 s57, s6, 6
	v_mul_lo_u32 v10, v4, s46
	v_mul_lo_u32 v11, v92, s46
	v_add_nc_u32_e32 v6, v91, v6
	v_sub_nc_u32_e32 v12, v93, v5
	s_sub_i32 s36, s36, s38
	v_cmp_gt_i32_e64 s5, s61, v114
	s_sub_i32 s38, s66, 32
	v_lshrrev_b32_e32 v6, s3, v6
	v_sub_nc_u32_e32 v10, v1, v10
	v_sub_nc_u32_e32 v94, v3, v11
	v_mul_lo_u32 v1, v4, s52
	v_sub_nc_u32_e32 v4, v92, v4
	v_mul_hi_u32 v9, v6, s10
	v_mul_lo_u32 v11, v6, s9
	v_mul_lo_u32 v3, v10, s54
	s_clause 0x3
	s_load_b32 s3, s[0:1], 0x188
	s_load_b64 s[40:41], s[0:1], 0x198
	s_load_b32 s33, s[0:1], 0x1a4
	s_load_b32 s58, s[0:1], 0x1b0
	v_sub_nc_u32_e32 v10, v94, v10
	v_mul_lo_u32 v116, v4, s52
	s_sub_i32 s66, 0, s47
	v_add_nc_u32_e32 v9, v6, v9
	v_sub_nc_u32_e32 v11, v91, v11
	v_mul_lo_u32 v117, v10, s54
	s_delay_alu instid0(VALU_DEP_3) | instskip(SKIP_1) | instid1(VALU_DEP_3)
	v_lshrrev_b32_e32 v9, s2, v9
	s_sub_i32 s2, s30, s34
	v_mad_u64_u32 v[95:96], null, v11, s55, v[3:4]
	s_mul_i32 s2, s2, s31
	s_delay_alu instid0(VALU_DEP_2)
	v_mul_lo_u32 v13, v9, s8
	s_add_i32 s60, s60, s2
	v_mul_lo_u32 v3, v12, s27
	v_lshl_or_b32 v115, s60, 7, v8
	v_mul_lo_u32 v9, v9, s24
	s_lshl_b32 s2, s6, 2
	s_mov_b32 s31, s19
	s_waitcnt lgkmcnt(0)
	s_lshl_b32 s30, s3, 1
	v_sub_nc_u32_e32 v6, v6, v13
	v_lshlrev_b32_e32 v8, 2, v8
	v_or_b32_e32 v13, 32, v7
	v_or_b32_e32 v12, 20, v7
	v_mov_b32_e32 v29, 0
	v_mad_u64_u32 v[112:113], null, v6, s53, v[1:2]
	v_mul_lo_u32 v1, v5, s27
	v_mul_lo_u32 v113, v115, s14
	v_subrev_nc_u32_e32 v6, s56, v95
	v_cmp_le_i32_e64 s7, s56, v95
	v_cmp_gt_i32_e64 s8, s39, v95
	v_cmp_gt_i32_e32 vcc_lo, s12, v115
	v_subrev_nc_u32_e32 v10, s37, v112
	v_cmp_gt_i32_e64 s10, s36, v112
	v_mad_u64_u32 v[4:5], null, v6, s26, v[1:2]
	v_add_nc_u32_e32 v11, v113, v114
	s_delay_alu instid0(VALU_DEP_4) | instskip(SKIP_2) | instid1(VALU_DEP_2)
	v_mul_lo_u32 v1, v10, s25
	s_and_b32 s68, s7, s8
	s_mov_b32 s55, 0
	v_add_lshl_u32 v10, v11, s2, 1
	s_delay_alu instid0(VALU_DEP_4)
	v_mad_u64_u32 v[5:6], null, v116, s25, v[3:4]
	v_lshlrev_b32_e32 v3, 1, v11
	v_mul_lo_u32 v6, v117, s26
	buffer_load_b128 v[100:103], v10, s[28:31], 0 offen
	v_or_b32_e32 v11, 16, v7
	buffer_load_b128 v[96:99], v3, s[28:31], 0 offen
	v_add3_u32 v3, v4, v9, v1
	v_mul_lo_u32 v9, s6, v12
	v_mul_lo_u32 v10, s6, v11
	;; [unrolled: 1-line block ×4, first 2 shown]
	v_add3_u32 v1, v5, v6, v3
	v_lshlrev_b32_e32 v3, 1, v3
	v_mov_b32_e32 v33, 0
	v_lshlrev_b32_e32 v85, 1, v9
	v_lshlrev_b32_e32 v86, 1, v10
	;; [unrolled: 1-line block ×3, first 2 shown]
	s_clause 0x1
	buffer_load_b128 v[104:107], v3, s[16:19], 0 offen
	buffer_load_b128 v[108:111], v4, s[16:19], 0 offen
	v_lshrrev_b32_e32 v4, 5, v0
	v_dual_mov_b32 v90, v11 :: v_dual_lshlrev_b32 v3, 1, v0
	v_mov_b32_e32 v75, 0
	s_clause 0x2
	s_load_b32 s9, s[0:1], 0xe4
	s_load_b32 s53, s[0:1], 0xf0
	s_load_b64 s[34:35], s[0:1], 0x228
	v_lshlrev_b32_e32 v5, 6, v4
	v_and_b32_e32 v6, 0x1f8, v3
	v_and_b32_e32 v3, 0x1fc, v3
	v_lshlrev_b32_e32 v0, 2, v0
	s_clause 0x3
	s_load_b64 s[42:43], s[0:1], 0x1d8
	s_load_b64 s[14:15], s[0:1], 0x1e8
	s_load_b32 s13, s[0:1], 0x1f4
	s_load_b32 s24, s[0:1], 0x200
	s_waitcnt lgkmcnt(0)
	s_mov_b32 s43, s49
	v_sub_nc_u32_e32 v5, v6, v5
	v_sub_nc_u32_e32 v6, v3, v6
	v_lshl_or_b32 v3, v7, 9, v8
	v_mul_lo_u32 v7, s6, v14
	v_mul_lo_u32 v14, s65, v14
	v_and_or_b32 v82, v0, 4, v5
	v_add_nc_u32_e32 v0, s2, v114
	v_mul_lo_u32 v8, s6, v13
	s_lshl_b32 s49, s6, 5
	v_mul_lo_u32 v13, s65, v13
	v_lshl_add_u32 v83, v4, 3, v6
	v_cmp_gt_i32_e64 s6, s61, v0
	v_dual_mov_b32 v87, v14 :: v_dual_add_nc_u32 v0, v95, v117
	v_cmp_gt_i32_e64 s3, s53, v15
	v_cmp_gt_i32_e64 s4, s53, v2
	;; [unrolled: 1-line block ×3, first 2 shown]
	v_add_nc_u32_e32 v95, v112, v116
	v_cmp_le_i32_e64 s7, s56, v0
	v_cmp_gt_i32_e64 s8, s39, v0
	v_cmp_le_i32_e64 s9, s37, v112
	s_and_b32 s3, s3, s68
	v_cmp_le_i32_e64 s11, s37, v95
	v_cmp_gt_i32_e64 s12, s36, v95
	s_and_b32 s7, s7, s8
	v_dual_mov_b32 v49, 0 :: v_dual_lshlrev_b32 v80, 2, v83
	s_and_b32 s4, s4, s7
	s_and_b32 s7, s9, s10
	;; [unrolled: 1-line block ×4, first 2 shown]
	s_and_b32 s3, s5, vcc_lo
	s_and_b32 s4, s4, s8
	v_dual_mov_b32 v79, 0 :: v_dual_lshlrev_b32 v84, 1, v8
	v_dual_mov_b32 v55, 0 :: v_dual_mov_b32 v88, v13
	v_or_b32_e32 v4, 0x4000, v3
	v_or_b32_e32 v5, 0x2000, v3
	;; [unrolled: 1-line block ×3, first 2 shown]
	v_lshlrev_b32_e32 v81, 2, v82
	v_lshlrev_b32_e32 v15, 1, v7
	v_mov_b32_e32 v89, v12
	v_lshlrev_b32_e32 v91, 1, v113
	s_mov_b32 s35, 0
	s_lshl_b32 s65, s65, 5
	s_waitcnt vmcnt(2)
	v_cndmask_b32_e64 v97, 0, v97, s3
	v_cndmask_b32_e64 v96, 0, v96, s3
	;; [unrolled: 1-line block ×4, first 2 shown]
	s_and_b32 s3, s6, vcc_lo
	ds_store_2addr_stride64_b32 v3, v96, v97 offset0:64 offset1:66
	ds_store_2addr_stride64_b32 v3, v98, v99 offset0:68 offset1:70
	v_cndmask_b32_e64 v103, 0, v103, s3
	v_cndmask_b32_e64 v102, 0, v102, s3
	;; [unrolled: 1-line block ×4, first 2 shown]
	s_and_b32 s3, s2, s7
	s_waitcnt vmcnt(1)
	v_cndmask_b32_e64 v96, 0, v107, s3
	v_cndmask_b32_e64 v97, 0, v106, s3
	;; [unrolled: 1-line block ×4, first 2 shown]
	s_and_b32 s3, s2, s4
	s_waitcnt vmcnt(0)
	v_cndmask_b32_e64 v105, 0, v109, s3
	v_cndmask_b32_e64 v106, 0, v108, s3
	v_cndmask_b32_e64 v104, 0, v111, s3
	v_cndmask_b32_e64 v107, 0, v110, s3
	ds_store_2addr_stride64_b32 v3, v100, v101 offset0:72 offset1:74
	ds_store_2addr_stride64_b32 v3, v99, v98 offset1:2
	ds_store_2addr_stride64_b32 v3, v97, v96 offset0:4 offset1:6
	ds_store_2addr_stride64_b32 v3, v106, v105 offset0:8 offset1:10
	ds_store_2addr_stride64_b32 v3, v107, v104 offset0:12 offset1:14
	ds_store_2addr_stride64_b32 v3, v102, v103 offset0:76 offset1:78
.LBB6_1:                                ; =>This Inner Loop Header: Depth=1
	v_mul_hi_u32 v98, s43, v90
	v_add_nc_u32_e32 v99, s35, v11
	v_mul_hi_u32 v103, s43, v89
	v_add_nc_u32_e32 v102, s35, v12
	;; [unrolled: 2-line block ×3, first 2 shown]
	v_cmp_gt_i32_e64 s3, s53, v99
	v_mul_hi_u32 v97, s43, v88
	v_add_nc_u32_e32 v98, v99, v98
	v_add_nc_u32_e32 v90, s65, v90
	v_add_nc_u32_e32 v88, s65, v88
	s_add_i32 s64, s64, 32
	v_add_nc_u32_e32 v89, s65, v89
	v_lshrrev_b32_e32 v98, s51, v98
	v_add_nc_u32_e32 v87, s65, v87
	s_delay_alu instid0(VALU_DEP_2) | instskip(NEXT) | instid1(VALU_DEP_1)
	v_mul_lo_u32 v100, s66, v98
	v_sub_nc_u32_e32 v93, v100, v93
	v_add_nc_u32_e32 v104, v99, v100
	s_delay_alu instid0(VALU_DEP_2) | instskip(SKIP_1) | instid1(VALU_DEP_1)
	v_add_nc_u32_e32 v100, v99, v93
	v_mul_hi_u32 v93, v98, s48
	v_add_nc_u32_e32 v93, v98, v93
	s_delay_alu instid0(VALU_DEP_1) | instskip(NEXT) | instid1(VALU_DEP_1)
	v_lshrrev_b32_e32 v105, s50, v93
	v_mul_lo_u32 v93, v105, s46
	v_sub_nc_u32_e32 v92, v105, v92
	s_delay_alu instid0(VALU_DEP_2) | instskip(NEXT) | instid1(VALU_DEP_1)
	v_sub_nc_u32_e32 v106, v98, v93
	v_sub_nc_u32_e32 v93, v106, v94
	s_delay_alu instid0(VALU_DEP_1) | instskip(NEXT) | instid1(VALU_DEP_1)
	v_mul_lo_u32 v93, v93, s54
	v_add_nc_u32_e32 v107, v93, v0
	v_mul_lo_u32 v0, v92, s52
	v_mul_lo_u32 v94, v93, s26
	v_mad_u64_u32 v[92:93], null, v100, s27, v[1:2]
	s_delay_alu instid0(VALU_DEP_4) | instskip(SKIP_4) | instid1(VALU_DEP_4)
	v_cmp_le_i32_e64 s4, s56, v107
	v_cmp_gt_i32_e64 s5, s39, v107
	v_add3_u32 v2, s67, s67, v2
	v_add_nc_u32_e32 v108, v0, v95
	v_mul_lo_u32 v0, v0, s25
	s_and_b32 s4, s4, s5
	s_delay_alu instid0(SALU_CYCLE_1) | instskip(NEXT) | instid1(VALU_DEP_2)
	s_and_b32 s5, s3, s4
	v_cmp_le_i32_e64 s3, s37, v108
	v_cmp_gt_i32_e64 s4, s36, v108
	s_delay_alu instid0(VALU_DEP_3) | instskip(NEXT) | instid1(VALU_DEP_2)
	v_add3_u32 v109, v92, v0, v94
	s_and_b32 s3, s3, s4
	s_delay_alu instid0(SALU_CYCLE_1) | instskip(NEXT) | instid1(VALU_DEP_1)
	s_and_b32 s3, s3, s5
	v_lshlrev_b32_e32 v0, 1, v109
	s_and_b32 s3, s2, s3
	buffer_load_b128 v[92:95], v0, s[16:19], 0 offen
	v_add_nc_u32_e32 v0, v102, v103
	s_waitcnt vmcnt(0)
	v_cndmask_b32_e64 v101, 0, v92, s3
	s_delay_alu instid0(VALU_DEP_2)
	v_lshrrev_b32_e32 v92, s51, v0
	v_cndmask_b32_e64 v100, 0, v93, s3
	v_cndmask_b32_e64 v98, 0, v95, s3
	;; [unrolled: 1-line block ×3, first 2 shown]
	v_cmp_gt_i32_e64 s3, s53, v102
	v_mad_u64_u32 v[0:1], null, s66, v92, v[102:103]
	v_mul_hi_u32 v1, v92, s48
	s_delay_alu instid0(VALU_DEP_2) | instskip(NEXT) | instid1(VALU_DEP_2)
	v_sub_nc_u32_e32 v95, v0, v104
	v_add_nc_u32_e32 v1, v92, v1
	s_delay_alu instid0(VALU_DEP_2) | instskip(NEXT) | instid1(VALU_DEP_2)
	v_mul_lo_u32 v95, v95, s27
	v_lshrrev_b32_e32 v1, s50, v1
	s_delay_alu instid0(VALU_DEP_1) | instskip(SKIP_1) | instid1(VALU_DEP_1)
	v_mul_lo_u32 v93, v1, s46
	v_sub_nc_u32_e32 v94, v1, v105
	v_mul_lo_u32 v105, v94, s52
	s_delay_alu instid0(VALU_DEP_3) | instskip(NEXT) | instid1(VALU_DEP_1)
	v_sub_nc_u32_e32 v92, v92, v93
	v_sub_nc_u32_e32 v93, v92, v106
	s_delay_alu instid0(VALU_DEP_3) | instskip(NEXT) | instid1(VALU_DEP_2)
	v_add_nc_u32_e32 v94, v105, v108
	v_mul_lo_u32 v103, v93, s54
	s_delay_alu instid0(VALU_DEP_1) | instskip(SKIP_2) | instid1(VALU_DEP_3)
	v_add_nc_u32_e32 v93, v103, v107
	v_mul_lo_u32 v106, v103, s26
	v_mad_u64_u32 v[103:104], null, v105, s25, v[95:96]
	v_cmp_le_i32_e64 s4, s56, v93
	v_cmp_gt_i32_e64 s5, s39, v93
	s_delay_alu instid0(VALU_DEP_3) | instskip(NEXT) | instid1(VALU_DEP_2)
	v_add3_u32 v95, v103, v109, v106
	s_and_b32 s4, s4, s5
	s_delay_alu instid0(SALU_CYCLE_1) | instskip(SKIP_1) | instid1(VALU_DEP_2)
	s_and_b32 s5, s3, s4
	v_cmp_le_i32_e64 s3, s37, v94
	v_lshlrev_b32_e32 v103, 1, v95
	v_cmp_gt_i32_e64 s4, s36, v94
	buffer_load_b128 v[105:108], v103, s[16:19], 0 offen
	s_and_b32 s3, s3, s4
	s_delay_alu instid0(SALU_CYCLE_1) | instskip(NEXT) | instid1(SALU_CYCLE_1)
	s_and_b32 s3, s3, s5
	s_and_b32 s3, s2, s3
	s_waitcnt vmcnt(0)
	v_cndmask_b32_e64 v104, 0, v106, s3
	v_add_nc_u32_e32 v106, v86, v91
	v_cndmask_b32_e64 v102, 0, v108, s3
	v_cndmask_b32_e64 v103, 0, v107, s3
	;; [unrolled: 1-line block ×3, first 2 shown]
	v_cmp_gt_i32_e64 s3, s61, v110
	buffer_load_b128 v[109:112], v106, s[28:31], 0 offen
	s_and_b32 s3, vcc_lo, s3
	s_waitcnt vmcnt(0)
	v_cndmask_b32_e64 v107, 0, v111, s3
	v_add_nc_u32_e32 v111, v85, v91
	v_cndmask_b32_e64 v108, 0, v110, s3
	v_add_nc_u32_e32 v110, s55, v9
	v_cndmask_b32_e64 v106, 0, v112, s3
	v_cndmask_b32_e64 v109, 0, v109, s3
	buffer_load_b128 v[113:116], v111, s[28:31], 0 offen
	s_waitcnt lgkmcnt(0)
	v_cmp_gt_i32_e64 s3, s61, v110
	s_waitcnt vmcnt(0)
	s_barrier
	s_delay_alu instid0(VALU_DEP_1) | instskip(NEXT) | instid1(SALU_CYCLE_1)
	s_and_b32 s3, vcc_lo, s3
	v_cndmask_b32_e64 v110, 0, v116, s3
	v_cndmask_b32_e64 v111, 0, v115, s3
	;; [unrolled: 1-line block ×3, first 2 shown]
	ds_load_b128 v[114:117], v80
	ds_load_b128 v[118:121], v81 offset:16384
	ds_load_b128 v[122:125], v81 offset:16640
	ds_load_b128 v[126:129], v80 offset:256
	v_cndmask_b32_e64 v113, 0, v113, s3
	s_waitcnt lgkmcnt(2)
	v_dot2acc_f32_f16 v79, v114, v118
	s_waitcnt lgkmcnt(1)
	v_dot2acc_f32_f16 v45, v114, v124
	v_dot2acc_f32_f16 v78, v114, v119
	;; [unrolled: 1-line block ×7, first 2 shown]
	v_dual_dot2acc_f32_f16 v40, v115, v121 :: v_dual_dot2acc_f32_f16 v71, v116, v118
	v_dual_dot2acc_f32_f16 v70, v116, v119 :: v_dual_dot2acc_f32_f16 v43, v115, v125
	v_dot2acc_f32_f16 v38, v116, v120
	v_dot2acc_f32_f16 v39, v116, v121
	;; [unrolled: 1-line block ×5, first 2 shown]
	v_dual_dot2acc_f32_f16 v30, v117, v121 :: v_dual_dot2acc_f32_f16 v69, v116, v122
	v_dot2acc_f32_f16 v77, v114, v122
	v_dual_dot2acc_f32_f16 v76, v114, v123 :: v_dual_dot2acc_f32_f16 v37, v116, v124
	v_dual_dot2acc_f32_f16 v44, v114, v125 :: v_dual_dot2acc_f32_f16 v73, v115, v122
	v_dual_dot2acc_f32_f16 v72, v115, v123 :: v_dual_dot2acc_f32_f16 v65, v117, v122
	s_waitcnt lgkmcnt(0)
	v_dual_dot2acc_f32_f16 v42, v115, v124 :: v_dual_dot2acc_f32_f16 v63, v126, v118
	v_dual_dot2acc_f32_f16 v68, v116, v123 :: v_dual_dot2acc_f32_f16 v35, v117, v124
	v_dual_dot2acc_f32_f16 v36, v116, v125 :: v_dual_dot2acc_f32_f16 v17, v126, v120
	v_dual_dot2acc_f32_f16 v64, v117, v123 :: v_dual_dot2acc_f32_f16 v59, v127, v118
	v_dual_dot2acc_f32_f16 v34, v117, v125 :: v_dual_dot2acc_f32_f16 v23, v127, v120
	ds_load_b128 v[114:117], v80 offset:512
	v_dual_dot2acc_f32_f16 v62, v126, v119 :: v_dual_dot2acc_f32_f16 v25, v128, v120
	v_dual_dot2acc_f32_f16 v16, v126, v121 :: v_dual_dot2acc_f32_f16 v51, v128, v119
	v_dual_dot2acc_f32_f16 v58, v127, v119 :: v_dual_dot2acc_f32_f16 v33, v129, v121
	v_dual_dot2acc_f32_f16 v22, v127, v121 :: v_dual_dot2acc_f32_f16 v61, v126, v122
	v_dual_dot2acc_f32_f16 v52, v128, v118 :: v_dual_dot2acc_f32_f16 v19, v126, v125
	v_dual_dot2acc_f32_f16 v24, v128, v121 :: v_dual_dot2acc_f32_f16 v57, v127, v122
	v_dual_dot2acc_f32_f16 v46, v129, v118 :: v_dual_dot2acc_f32_f16 v53, v127, v123
	v_dual_dot2acc_f32_f16 v54, v129, v119 :: v_dual_dot2acc_f32_f16 v21, v127, v124
	v_dual_dot2acc_f32_f16 v32, v129, v120 :: v_dual_dot2acc_f32_f16 v47, v128, v123
	ds_load_b128 v[118:121], v81 offset:16896
	v_dual_dot2acc_f32_f16 v60, v126, v123 :: v_dual_dot2acc_f32_f16 v27, v128, v124
	v_dual_dot2acc_f32_f16 v18, v126, v124 :: v_dual_dot2acc_f32_f16 v55, v129, v122
	v_dot2acc_f32_f16 v20, v127, v125
	v_dual_dot2acc_f32_f16 v48, v128, v122 :: v_dual_dot2acc_f32_f16 v29, v129, v125
	v_dot2acc_f32_f16 v26, v128, v125
	v_dot2acc_f32_f16 v56, v129, v123
	v_dot2acc_f32_f16 v28, v129, v124
	ds_load_b128 v[122:125], v81 offset:17152
	ds_load_b128 v[126:129], v80 offset:768
	s_waitcnt lgkmcnt(2)
	v_dot2acc_f32_f16 v71, v116, v118
	v_dot2acc_f32_f16 v79, v114, v118
	v_dual_dot2acc_f32_f16 v78, v114, v119 :: v_dual_dot2acc_f32_f16 v41, v115, v120
	v_dual_dot2acc_f32_f16 v50, v114, v120 :: v_dual_dot2acc_f32_f16 v39, v116, v121
	v_dot2acc_f32_f16 v49, v114, v121
	v_dot2acc_f32_f16 v75, v115, v118
	v_dual_dot2acc_f32_f16 v74, v115, v119 :: v_dual_dot2acc_f32_f16 v67, v117, v118
	v_dual_dot2acc_f32_f16 v40, v115, v121 :: v_dual_dot2acc_f32_f16 v31, v117, v120
	s_waitcnt lgkmcnt(1)
	v_dual_dot2acc_f32_f16 v70, v116, v119 :: v_dual_dot2acc_f32_f16 v77, v114, v122
	v_dual_dot2acc_f32_f16 v38, v116, v120 :: v_dual_dot2acc_f32_f16 v73, v115, v122
	v_dual_dot2acc_f32_f16 v66, v117, v119 :: v_dual_dot2acc_f32_f16 v45, v114, v124
	v_dual_dot2acc_f32_f16 v30, v117, v121 :: v_dual_dot2acc_f32_f16 v69, v116, v122
	v_dual_dot2acc_f32_f16 v76, v114, v123 :: v_dual_dot2acc_f32_f16 v43, v115, v125
	v_dual_dot2acc_f32_f16 v44, v114, v125 :: v_dual_dot2acc_f32_f16 v37, v116, v124
	v_dual_dot2acc_f32_f16 v72, v115, v123 :: v_dual_dot2acc_f32_f16 v65, v117, v122
	s_waitcnt lgkmcnt(0)
	v_dual_dot2acc_f32_f16 v42, v115, v124 :: v_dual_dot2acc_f32_f16 v63, v126, v118
	v_dual_dot2acc_f32_f16 v68, v116, v123 :: v_dual_dot2acc_f32_f16 v35, v117, v124
	v_dual_dot2acc_f32_f16 v36, v116, v125 :: v_dual_dot2acc_f32_f16 v17, v126, v120
	v_dual_dot2acc_f32_f16 v64, v117, v123 :: v_dual_dot2acc_f32_f16 v59, v127, v118
	v_dual_dot2acc_f32_f16 v34, v117, v125 :: v_dual_dot2acc_f32_f16 v23, v127, v120
	ds_load_b128 v[114:117], v80 offset:1024
	v_dual_dot2acc_f32_f16 v62, v126, v119 :: v_dual_dot2acc_f32_f16 v25, v128, v120
	v_dual_dot2acc_f32_f16 v16, v126, v121 :: v_dual_dot2acc_f32_f16 v51, v128, v119
	v_dual_dot2acc_f32_f16 v58, v127, v119 :: v_dual_dot2acc_f32_f16 v33, v129, v121
	v_dual_dot2acc_f32_f16 v22, v127, v121 :: v_dual_dot2acc_f32_f16 v61, v126, v122
	v_dual_dot2acc_f32_f16 v52, v128, v118 :: v_dual_dot2acc_f32_f16 v19, v126, v125
	v_dual_dot2acc_f32_f16 v24, v128, v121 :: v_dual_dot2acc_f32_f16 v57, v127, v122
	v_dual_dot2acc_f32_f16 v46, v129, v118 :: v_dual_dot2acc_f32_f16 v53, v127, v123
	v_dual_dot2acc_f32_f16 v54, v129, v119 :: v_dual_dot2acc_f32_f16 v21, v127, v124
	v_dual_dot2acc_f32_f16 v32, v129, v120 :: v_dual_dot2acc_f32_f16 v47, v128, v123
	ds_load_b128 v[118:121], v81 offset:17408
	v_dual_dot2acc_f32_f16 v60, v126, v123 :: v_dual_dot2acc_f32_f16 v27, v128, v124
	v_dual_dot2acc_f32_f16 v18, v126, v124 :: v_dual_dot2acc_f32_f16 v55, v129, v122
	v_dot2acc_f32_f16 v20, v127, v125
	v_dual_dot2acc_f32_f16 v48, v128, v122 :: v_dual_dot2acc_f32_f16 v29, v129, v125
	v_dot2acc_f32_f16 v26, v128, v125
	v_dot2acc_f32_f16 v56, v129, v123
	v_dot2acc_f32_f16 v28, v129, v124
	ds_load_b128 v[122:125], v81 offset:17664
	ds_load_b128 v[126:129], v80 offset:1280
	s_waitcnt lgkmcnt(2)
	v_dot2acc_f32_f16 v71, v116, v118
	v_dot2acc_f32_f16 v79, v114, v118
	v_dual_dot2acc_f32_f16 v78, v114, v119 :: v_dual_dot2acc_f32_f16 v41, v115, v120
	v_dual_dot2acc_f32_f16 v50, v114, v120 :: v_dual_dot2acc_f32_f16 v39, v116, v121
	v_dot2acc_f32_f16 v49, v114, v121
	v_dot2acc_f32_f16 v75, v115, v118
	v_dual_dot2acc_f32_f16 v74, v115, v119 :: v_dual_dot2acc_f32_f16 v67, v117, v118
	v_dual_dot2acc_f32_f16 v40, v115, v121 :: v_dual_dot2acc_f32_f16 v31, v117, v120
	s_waitcnt lgkmcnt(1)
	v_dual_dot2acc_f32_f16 v70, v116, v119 :: v_dual_dot2acc_f32_f16 v77, v114, v122
	v_dual_dot2acc_f32_f16 v38, v116, v120 :: v_dual_dot2acc_f32_f16 v73, v115, v122
	v_dual_dot2acc_f32_f16 v66, v117, v119 :: v_dual_dot2acc_f32_f16 v45, v114, v124
	v_dual_dot2acc_f32_f16 v30, v117, v121 :: v_dual_dot2acc_f32_f16 v69, v116, v122
	;; [unrolled: 43-line block ×14, first 2 shown]
	v_dual_dot2acc_f32_f16 v76, v114, v123 :: v_dual_dot2acc_f32_f16 v43, v115, v125
	v_dual_dot2acc_f32_f16 v44, v114, v125 :: v_dual_dot2acc_f32_f16 v37, v116, v124
	;; [unrolled: 1-line block ×3, first 2 shown]
	s_waitcnt lgkmcnt(0)
	v_dual_dot2acc_f32_f16 v42, v115, v124 :: v_dual_dot2acc_f32_f16 v63, v126, v118
	v_dual_dot2acc_f32_f16 v68, v116, v123 :: v_dual_dot2acc_f32_f16 v35, v117, v124
	;; [unrolled: 1-line block ×5, first 2 shown]
	ds_load_b128 v[114:117], v80 offset:7680
	v_dual_dot2acc_f32_f16 v62, v126, v119 :: v_dual_dot2acc_f32_f16 v25, v128, v120
	v_dual_dot2acc_f32_f16 v16, v126, v121 :: v_dual_dot2acc_f32_f16 v51, v128, v119
	v_dual_dot2acc_f32_f16 v58, v127, v119 :: v_dual_dot2acc_f32_f16 v33, v129, v121
	v_dual_dot2acc_f32_f16 v22, v127, v121 :: v_dual_dot2acc_f32_f16 v61, v126, v122
	v_dual_dot2acc_f32_f16 v52, v128, v118 :: v_dual_dot2acc_f32_f16 v19, v126, v125
	v_dual_dot2acc_f32_f16 v24, v128, v121 :: v_dual_dot2acc_f32_f16 v57, v127, v122
	v_dual_dot2acc_f32_f16 v46, v129, v118 :: v_dual_dot2acc_f32_f16 v53, v127, v123
	v_dual_dot2acc_f32_f16 v54, v129, v119 :: v_dual_dot2acc_f32_f16 v21, v127, v124
	v_dual_dot2acc_f32_f16 v32, v129, v120 :: v_dual_dot2acc_f32_f16 v47, v128, v123
	ds_load_b128 v[118:121], v81 offset:24064
	v_dual_dot2acc_f32_f16 v60, v126, v123 :: v_dual_dot2acc_f32_f16 v27, v128, v124
	v_dual_dot2acc_f32_f16 v18, v126, v124 :: v_dual_dot2acc_f32_f16 v55, v129, v122
	v_dot2acc_f32_f16 v20, v127, v125
	v_dual_dot2acc_f32_f16 v48, v128, v122 :: v_dual_dot2acc_f32_f16 v29, v129, v125
	v_dot2acc_f32_f16 v26, v128, v125
	v_dot2acc_f32_f16 v56, v129, v123
	;; [unrolled: 1-line block ×3, first 2 shown]
	ds_load_b128 v[122:125], v81 offset:24320
	ds_load_b128 v[126:129], v80 offset:7936
	ds_store_2addr_stride64_b32 v3, v101, v100 offset0:32 offset1:34
	ds_store_2addr_stride64_b32 v3, v99, v98 offset0:36 offset1:38
	ds_store_b32 v5, v105 offset:2048
	ds_store_2addr_stride64_b32 v3, v104, v103 offset0:42 offset1:44
	ds_store_2addr_stride64_b32 v3, v102, v109 offset0:46 offset1:96
	ds_store_2addr_stride64_b32 v3, v108, v107 offset0:98 offset1:100
	ds_store_b32 v6, v113 offset:2048
	ds_store_2addr_stride64_b32 v3, v106, v112 offset0:102 offset1:106
	ds_store_2addr_stride64_b32 v3, v111, v110 offset0:108 offset1:110
	v_add_nc_u32_e32 v109, s55, v8
	s_waitcnt lgkmcnt(11)
	v_dot2acc_f32_f16 v71, v116, v118
	v_dual_dot2acc_f32_f16 v79, v114, v118 :: v_dual_add_nc_u32 v98, s35, v13
	v_dot2acc_f32_f16 v49, v114, v121
	v_dual_dot2acc_f32_f16 v75, v115, v118 :: v_dual_dot2acc_f32_f16 v78, v114, v119
	v_dot2acc_f32_f16 v41, v115, v120
	s_delay_alu instid0(VALU_DEP_4)
	v_add_nc_u32_e32 v97, v98, v97
	v_cmp_gt_i32_e64 s3, s53, v98
	v_dual_dot2acc_f32_f16 v50, v114, v120 :: v_dual_dot2acc_f32_f16 v39, v116, v121
	s_waitcnt lgkmcnt(9)
	v_dot2acc_f32_f16 v56, v129, v123
	v_lshrrev_b32_e32 v97, s51, v97
	v_dot2acc_f32_f16 v28, v129, v124
	v_dual_dot2acc_f32_f16 v40, v115, v121 :: v_dual_dot2acc_f32_f16 v31, v117, v120
	v_dual_dot2acc_f32_f16 v74, v115, v119 :: v_dual_dot2acc_f32_f16 v67, v117, v118
	s_delay_alu instid0(VALU_DEP_4)
	v_mad_u64_u32 v[99:100], null, s66, v97, v[98:99]
	v_mul_hi_u32 v100, v97, s48
	v_dual_dot2acc_f32_f16 v38, v116, v120 :: v_dual_dot2acc_f32_f16 v73, v115, v122
	v_dot2acc_f32_f16 v26, v128, v125
	v_dual_dot2acc_f32_f16 v70, v116, v119 :: v_dual_dot2acc_f32_f16 v77, v114, v122
	v_sub_nc_u32_e32 v0, v99, v0
	v_dual_dot2acc_f32_f16 v66, v117, v119 :: v_dual_dot2acc_f32_f16 v45, v114, v124
	v_add_nc_u32_e32 v100, v97, v100
	v_dual_dot2acc_f32_f16 v76, v114, v123 :: v_dual_dot2acc_f32_f16 v43, v115, v125
	s_delay_alu instid0(VALU_DEP_4) | instskip(SKIP_1) | instid1(VALU_DEP_4)
	v_mul_lo_u32 v0, v0, s27
	v_dual_dot2acc_f32_f16 v44, v114, v125 :: v_dual_dot2acc_f32_f16 v37, v116, v124
	v_lshrrev_b32_e32 v104, s50, v100
	v_dual_dot2acc_f32_f16 v30, v117, v121 :: v_dual_dot2acc_f32_f16 v69, v116, v122
	v_dual_dot2acc_f32_f16 v72, v115, v123 :: v_dual_dot2acc_f32_f16 v65, v117, v122
	s_delay_alu instid0(VALU_DEP_3) | instskip(SKIP_3) | instid1(VALU_DEP_3)
	v_mul_lo_u32 v100, v104, s46
	v_sub_nc_u32_e32 v1, v104, v1
	v_dual_dot2acc_f32_f16 v42, v115, v124 :: v_dual_dot2acc_f32_f16 v63, v126, v118
	v_dual_dot2acc_f32_f16 v68, v116, v123 :: v_dual_dot2acc_f32_f16 v35, v117, v124
	v_mul_lo_u32 v1, v1, s52
	v_dot2acc_f32_f16 v20, v127, v125
	v_sub_nc_u32_e32 v105, v97, v100
	v_dual_dot2acc_f32_f16 v36, v116, v125 :: v_dual_add_nc_u32 v97, s35, v14
	v_dual_dot2acc_f32_f16 v17, v126, v120 :: v_dual_dot2acc_f32_f16 v64, v117, v123
	v_dot2acc_f32_f16 v59, v127, v118
	s_delay_alu instid0(VALU_DEP_4) | instskip(SKIP_3) | instid1(VALU_DEP_4)
	v_sub_nc_u32_e32 v92, v105, v92
	v_add_nc_u32_e32 v107, v1, v94
	v_dual_dot2acc_f32_f16 v34, v117, v125 :: v_dual_dot2acc_f32_f16 v23, v127, v120
	v_dual_dot2acc_f32_f16 v62, v126, v119 :: v_dual_dot2acc_f32_f16 v25, v128, v120
	v_mul_lo_u32 v92, v92, s54
	v_dual_dot2acc_f32_f16 v16, v126, v121 :: v_dual_dot2acc_f32_f16 v51, v128, v119
	v_dual_dot2acc_f32_f16 v58, v127, v119 :: v_dual_dot2acc_f32_f16 v33, v129, v121
	;; [unrolled: 1-line block ×4, first 2 shown]
	v_add_nc_u32_e32 v106, v92, v93
	v_mul_lo_u32 v94, v92, s26
	v_mad_u64_u32 v[92:93], null, v1, s25, v[0:1]
	v_dual_dot2acc_f32_f16 v24, v128, v121 :: v_dual_dot2acc_f32_f16 v57, v127, v122
	s_delay_alu instid0(VALU_DEP_4) | instskip(SKIP_4) | instid1(VALU_DEP_4)
	v_cmp_le_i32_e64 s4, s56, v106
	v_cmp_gt_i32_e64 s5, s39, v106
	v_dual_dot2acc_f32_f16 v46, v129, v118 :: v_dual_dot2acc_f32_f16 v53, v127, v123
	v_add3_u32 v108, v92, v94, v95
	v_dual_dot2acc_f32_f16 v54, v129, v119 :: v_dual_dot2acc_f32_f16 v21, v127, v124
	s_and_b32 s4, s4, s5
	v_dual_dot2acc_f32_f16 v32, v129, v120 :: v_dual_dot2acc_f32_f16 v47, v128, v123
	s_delay_alu instid0(VALU_DEP_3)
	v_lshlrev_b32_e32 v0, 1, v108
	s_and_b32 s5, s3, s4
	v_cmp_le_i32_e64 s3, s37, v107
	v_cmp_gt_i32_e64 s4, s36, v107
	v_dual_dot2acc_f32_f16 v60, v126, v123 :: v_dual_dot2acc_f32_f16 v27, v128, v124
	buffer_load_b128 v[92:95], v0, s[16:19], 0 offen
	v_add_nc_u32_e32 v0, v97, v96
	s_and_b32 s3, s3, s4
	v_dual_dot2acc_f32_f16 v18, v126, v124 :: v_dual_dot2acc_f32_f16 v55, v129, v122
	s_and_b32 s3, s3, s5
	v_dual_dot2acc_f32_f16 v48, v128, v122 :: v_dual_dot2acc_f32_f16 v29, v129, v125
	s_and_b32 s3, s2, s3
	s_add_i32 s35, s35, s65
	s_waitcnt vmcnt(0)
	v_cndmask_b32_e64 v101, 0, v94, s3
	v_lshrrev_b32_e32 v94, s51, v0
	v_cndmask_b32_e64 v102, 0, v93, s3
	v_cndmask_b32_e64 v103, 0, v92, s3
	;; [unrolled: 1-line block ×3, first 2 shown]
	v_cmp_gt_i32_e64 s3, s53, v97
	v_mul_lo_u32 v0, v94, s47
	s_delay_alu instid0(VALU_DEP_1) | instskip(SKIP_1) | instid1(VALU_DEP_1)
	v_sub_nc_u32_e32 v93, v2, v0
	v_mad_u64_u32 v[0:1], null, s66, v94, v[97:98]
	v_sub_nc_u32_e32 v1, v0, v99
	v_mul_hi_u32 v0, v94, s48
	s_delay_alu instid0(VALU_DEP_2) | instskip(NEXT) | instid1(VALU_DEP_2)
	v_mul_lo_u32 v1, v1, s27
	v_add_nc_u32_e32 v0, v94, v0
	s_delay_alu instid0(VALU_DEP_1) | instskip(NEXT) | instid1(VALU_DEP_1)
	v_lshrrev_b32_e32 v92, s50, v0
	v_mul_lo_u32 v0, v92, s46
	v_sub_nc_u32_e32 v95, v92, v104
	s_delay_alu instid0(VALU_DEP_1) | instskip(NEXT) | instid1(VALU_DEP_3)
	v_mul_lo_u32 v104, v95, s52
	v_sub_nc_u32_e32 v94, v94, v0
	s_delay_alu instid0(VALU_DEP_1) | instskip(NEXT) | instid1(VALU_DEP_3)
	v_sub_nc_u32_e32 v0, v94, v105
	v_mad_u64_u32 v[98:99], null, v104, s25, v[1:2]
	v_add_nc_u32_e32 v95, v104, v107
	s_delay_alu instid0(VALU_DEP_3) | instskip(NEXT) | instid1(VALU_DEP_1)
	v_mul_lo_u32 v96, v0, s54
	v_add_nc_u32_e32 v0, v96, v106
	v_mul_lo_u32 v96, v96, s26
	s_delay_alu instid0(VALU_DEP_2) | instskip(SKIP_1) | instid1(VALU_DEP_3)
	v_cmp_le_i32_e64 s4, s56, v0
	v_cmp_gt_i32_e64 s5, s39, v0
	v_add3_u32 v1, v98, v96, v108
	s_delay_alu instid0(VALU_DEP_2) | instskip(NEXT) | instid1(SALU_CYCLE_1)
	s_and_b32 s4, s4, s5
	s_and_b32 s5, s3, s4
	s_delay_alu instid0(VALU_DEP_1) | instskip(SKIP_4) | instid1(SALU_CYCLE_1)
	v_lshlrev_b32_e32 v96, 1, v1
	v_cmp_le_i32_e64 s3, s37, v95
	v_cmp_gt_i32_e64 s4, s36, v95
	buffer_load_b128 v[96:99], v96, s[16:19], 0 offen
	s_and_b32 s3, s3, s4
	s_and_b32 s3, s3, s5
	s_delay_alu instid0(SALU_CYCLE_1)
	s_and_b32 s3, s2, s3
	s_waitcnt vmcnt(0)
	v_cndmask_b32_e64 v107, 0, v96, s3
	v_add_nc_u32_e32 v96, v84, v91
	v_cndmask_b32_e64 v104, 0, v99, s3
	v_cndmask_b32_e64 v105, 0, v98, s3
	;; [unrolled: 1-line block ×3, first 2 shown]
	v_cmp_gt_i32_e64 s3, s61, v109
	buffer_load_b128 v[108:111], v96, s[28:31], 0 offen
	s_and_b32 s3, vcc_lo, s3
	s_waitcnt vmcnt(0)
	v_cndmask_b32_e64 v99, 0, v108, s3
	v_add_nc_u32_e32 v108, v15, v91
	v_cndmask_b32_e64 v96, 0, v111, s3
	v_cndmask_b32_e64 v98, 0, v109, s3
	v_add_nc_u32_e32 v109, s55, v7
	v_cndmask_b32_e64 v97, 0, v110, s3
	buffer_load_b128 v[111:114], v108, s[28:31], 0 offen
	s_waitcnt vmcnt(0) lgkmcnt(0)
	s_barrier
	v_cmp_gt_i32_e64 s3, s61, v109
	v_add_nc_u32_e32 v91, s57, v91
	s_add_i32 s55, s55, s49
	s_delay_alu instid0(VALU_DEP_2)
	s_and_b32 s3, vcc_lo, s3
	s_cmp_lt_i32 s64, s38
	v_cndmask_b32_e64 v108, 0, v114, s3
	v_cndmask_b32_e64 v109, 0, v113, s3
	;; [unrolled: 1-line block ×3, first 2 shown]
	ds_load_b128 v[112:115], v80 offset:8192
	ds_load_b128 v[116:119], v81 offset:24576
	;; [unrolled: 1-line block ×4, first 2 shown]
	v_cndmask_b32_e64 v111, 0, v111, s3
	s_waitcnt lgkmcnt(2)
	v_dot2acc_f32_f16 v78, v112, v117
	v_dot2acc_f32_f16 v79, v112, v116
	s_waitcnt lgkmcnt(1)
	v_dual_dot2acc_f32_f16 v50, v112, v118 :: v_dual_dot2acc_f32_f16 v43, v113, v123
	v_dot2acc_f32_f16 v49, v112, v119
	v_dot2acc_f32_f16 v75, v113, v116
	;; [unrolled: 1-line block ×4, first 2 shown]
	v_dual_dot2acc_f32_f16 v40, v113, v119 :: v_dual_dot2acc_f32_f16 v45, v112, v122
	v_dot2acc_f32_f16 v71, v114, v116
	v_dual_dot2acc_f32_f16 v70, v114, v117 :: v_dual_dot2acc_f32_f16 v65, v115, v120
	s_waitcnt lgkmcnt(0)
	v_dual_dot2acc_f32_f16 v38, v114, v118 :: v_dual_dot2acc_f32_f16 v63, v124, v116
	v_dot2acc_f32_f16 v39, v114, v119
	v_dot2acc_f32_f16 v67, v115, v116
	v_dual_dot2acc_f32_f16 v66, v115, v117 :: v_dual_dot2acc_f32_f16 v69, v114, v120
	v_dot2acc_f32_f16 v31, v115, v118
	v_dual_dot2acc_f32_f16 v30, v115, v119 :: v_dual_dot2acc_f32_f16 v37, v114, v122
	;; [unrolled: 2-line block ×3, first 2 shown]
	v_dual_dot2acc_f32_f16 v44, v112, v123 :: v_dual_dot2acc_f32_f16 v59, v125, v116
	v_dot2acc_f32_f16 v73, v113, v120
	v_dual_dot2acc_f32_f16 v72, v113, v121 :: v_dual_dot2acc_f32_f16 v17, v124, v118
	v_dual_dot2acc_f32_f16 v42, v113, v122 :: v_dual_dot2acc_f32_f16 v51, v126, v117
	v_dual_dot2acc_f32_f16 v68, v114, v121 :: v_dual_dot2acc_f32_f16 v23, v125, v118
	v_dual_dot2acc_f32_f16 v36, v114, v123 :: v_dual_dot2acc_f32_f16 v61, v124, v120
	v_dual_dot2acc_f32_f16 v64, v115, v121 :: v_dual_dot2acc_f32_f16 v25, v126, v118
	v_dual_dot2acc_f32_f16 v34, v115, v123 :: v_dual_dot2acc_f32_f16 v57, v125, v120
	ds_load_b128 v[112:115], v80 offset:8704
	v_dual_dot2acc_f32_f16 v62, v124, v117 :: v_dual_dot2acc_f32_f16 v33, v127, v119
	v_dual_dot2acc_f32_f16 v16, v124, v119 :: v_dual_dot2acc_f32_f16 v53, v125, v121
	v_dual_dot2acc_f32_f16 v58, v125, v117 :: v_dual_dot2acc_f32_f16 v19, v124, v123
	v_dual_dot2acc_f32_f16 v22, v125, v119 :: v_dual_dot2acc_f32_f16 v47, v126, v121
	v_dual_dot2acc_f32_f16 v52, v126, v116 :: v_dual_dot2acc_f32_f16 v21, v125, v122
	v_dual_dot2acc_f32_f16 v24, v126, v119 :: v_dual_dot2acc_f32_f16 v55, v127, v120
	v_dual_dot2acc_f32_f16 v46, v127, v116 :: v_dual_dot2acc_f32_f16 v27, v126, v122
	v_dot2acc_f32_f16 v54, v127, v117
	v_dot2acc_f32_f16 v32, v127, v118
	ds_load_b128 v[116:119], v81 offset:25088
	v_dual_dot2acc_f32_f16 v60, v124, v121 :: v_dual_dot2acc_f32_f16 v29, v127, v123
	v_dot2acc_f32_f16 v18, v124, v122
	v_dot2acc_f32_f16 v20, v125, v123
	v_dot2acc_f32_f16 v48, v126, v120
	v_dot2acc_f32_f16 v26, v126, v123
	v_dot2acc_f32_f16 v56, v127, v121
	v_dot2acc_f32_f16 v28, v127, v122
	ds_load_b128 v[120:123], v81 offset:25344
	ds_load_b128 v[124:127], v80 offset:8960
	s_waitcnt lgkmcnt(2)
	v_dot2acc_f32_f16 v79, v112, v116
	v_dual_dot2acc_f32_f16 v78, v112, v117 :: v_dual_dot2acc_f32_f16 v31, v115, v118
	v_dot2acc_f32_f16 v50, v112, v118
	v_dot2acc_f32_f16 v49, v112, v119
	v_dot2acc_f32_f16 v75, v113, v116
	v_dot2acc_f32_f16 v74, v113, v117
	v_dot2acc_f32_f16 v41, v113, v118
	s_waitcnt lgkmcnt(1)
	v_dual_dot2acc_f32_f16 v45, v112, v122 :: v_dual_dot2acc_f32_f16 v40, v113, v119
	v_dot2acc_f32_f16 v69, v114, v120
	v_dot2acc_f32_f16 v71, v114, v116
	v_dual_dot2acc_f32_f16 v70, v114, v117 :: v_dual_dot2acc_f32_f16 v43, v113, v123
	v_dual_dot2acc_f32_f16 v38, v114, v118 :: v_dual_dot2acc_f32_f16 v65, v115, v120
	v_dot2acc_f32_f16 v39, v114, v119
	v_dot2acc_f32_f16 v67, v115, v116
	v_dual_dot2acc_f32_f16 v66, v115, v117 :: v_dual_dot2acc_f32_f16 v37, v114, v122
	s_waitcnt lgkmcnt(0)
	v_dual_dot2acc_f32_f16 v30, v115, v119 :: v_dual_dot2acc_f32_f16 v63, v124, v116
	v_dot2acc_f32_f16 v77, v112, v120
	v_dual_dot2acc_f32_f16 v76, v112, v121 :: v_dual_dot2acc_f32_f16 v35, v115, v122
	v_dual_dot2acc_f32_f16 v44, v112, v123 :: v_dual_dot2acc_f32_f16 v59, v125, v116
	v_dot2acc_f32_f16 v73, v113, v120
	v_dual_dot2acc_f32_f16 v72, v113, v121 :: v_dual_dot2acc_f32_f16 v17, v124, v118
	v_dual_dot2acc_f32_f16 v42, v113, v122 :: v_dual_dot2acc_f32_f16 v51, v126, v117
	v_dual_dot2acc_f32_f16 v68, v114, v121 :: v_dual_dot2acc_f32_f16 v23, v125, v118
	v_dual_dot2acc_f32_f16 v36, v114, v123 :: v_dual_dot2acc_f32_f16 v61, v124, v120
	v_dual_dot2acc_f32_f16 v64, v115, v121 :: v_dual_dot2acc_f32_f16 v25, v126, v118
	v_dual_dot2acc_f32_f16 v34, v115, v123 :: v_dual_dot2acc_f32_f16 v57, v125, v120
	ds_load_b128 v[112:115], v80 offset:9216
	v_dual_dot2acc_f32_f16 v62, v124, v117 :: v_dual_dot2acc_f32_f16 v33, v127, v119
	v_dual_dot2acc_f32_f16 v16, v124, v119 :: v_dual_dot2acc_f32_f16 v53, v125, v121
	v_dual_dot2acc_f32_f16 v58, v125, v117 :: v_dual_dot2acc_f32_f16 v19, v124, v123
	v_dual_dot2acc_f32_f16 v22, v125, v119 :: v_dual_dot2acc_f32_f16 v47, v126, v121
	v_dual_dot2acc_f32_f16 v52, v126, v116 :: v_dual_dot2acc_f32_f16 v21, v125, v122
	v_dual_dot2acc_f32_f16 v24, v126, v119 :: v_dual_dot2acc_f32_f16 v55, v127, v120
	v_dual_dot2acc_f32_f16 v46, v127, v116 :: v_dual_dot2acc_f32_f16 v27, v126, v122
	v_dot2acc_f32_f16 v54, v127, v117
	v_dot2acc_f32_f16 v32, v127, v118
	ds_load_b128 v[116:119], v81 offset:25600
	v_dual_dot2acc_f32_f16 v60, v124, v121 :: v_dual_dot2acc_f32_f16 v29, v127, v123
	v_dot2acc_f32_f16 v18, v124, v122
	v_dot2acc_f32_f16 v20, v125, v123
	v_dot2acc_f32_f16 v48, v126, v120
	v_dot2acc_f32_f16 v26, v126, v123
	v_dot2acc_f32_f16 v56, v127, v121
	v_dot2acc_f32_f16 v28, v127, v122
	ds_load_b128 v[120:123], v81 offset:25856
	ds_load_b128 v[124:127], v80 offset:9472
	s_waitcnt lgkmcnt(2)
	v_dot2acc_f32_f16 v79, v112, v116
	v_dual_dot2acc_f32_f16 v78, v112, v117 :: v_dual_dot2acc_f32_f16 v31, v115, v118
	v_dot2acc_f32_f16 v50, v112, v118
	v_dot2acc_f32_f16 v49, v112, v119
	v_dot2acc_f32_f16 v75, v113, v116
	v_dot2acc_f32_f16 v74, v113, v117
	v_dot2acc_f32_f16 v41, v113, v118
	s_waitcnt lgkmcnt(1)
	v_dual_dot2acc_f32_f16 v45, v112, v122 :: v_dual_dot2acc_f32_f16 v40, v113, v119
	v_dot2acc_f32_f16 v69, v114, v120
	v_dot2acc_f32_f16 v71, v114, v116
	v_dual_dot2acc_f32_f16 v70, v114, v117 :: v_dual_dot2acc_f32_f16 v43, v113, v123
	v_dual_dot2acc_f32_f16 v38, v114, v118 :: v_dual_dot2acc_f32_f16 v65, v115, v120
	v_dot2acc_f32_f16 v39, v114, v119
	v_dot2acc_f32_f16 v67, v115, v116
	v_dual_dot2acc_f32_f16 v66, v115, v117 :: v_dual_dot2acc_f32_f16 v37, v114, v122
	s_waitcnt lgkmcnt(0)
	v_dual_dot2acc_f32_f16 v30, v115, v119 :: v_dual_dot2acc_f32_f16 v63, v124, v116
	v_dot2acc_f32_f16 v77, v112, v120
	v_dual_dot2acc_f32_f16 v76, v112, v121 :: v_dual_dot2acc_f32_f16 v35, v115, v122
	;; [unrolled: 49-line block ×14, first 2 shown]
	v_dual_dot2acc_f32_f16 v44, v112, v123 :: v_dual_dot2acc_f32_f16 v59, v125, v116
	v_dot2acc_f32_f16 v73, v113, v120
	v_dual_dot2acc_f32_f16 v72, v113, v121 :: v_dual_dot2acc_f32_f16 v17, v124, v118
	v_dual_dot2acc_f32_f16 v42, v113, v122 :: v_dual_dot2acc_f32_f16 v51, v126, v117
	;; [unrolled: 1-line block ×6, first 2 shown]
	ds_load_b128 v[112:115], v80 offset:15872
	v_dual_dot2acc_f32_f16 v62, v124, v117 :: v_dual_dot2acc_f32_f16 v33, v127, v119
	v_dual_dot2acc_f32_f16 v16, v124, v119 :: v_dual_dot2acc_f32_f16 v53, v125, v121
	;; [unrolled: 1-line block ×7, first 2 shown]
	v_dot2acc_f32_f16 v54, v127, v117
	v_dot2acc_f32_f16 v32, v127, v118
	ds_load_b128 v[116:119], v81 offset:32256
	v_dual_dot2acc_f32_f16 v60, v124, v121 :: v_dual_dot2acc_f32_f16 v29, v127, v123
	v_dot2acc_f32_f16 v18, v124, v122
	v_dot2acc_f32_f16 v20, v125, v123
	;; [unrolled: 1-line block ×6, first 2 shown]
	ds_load_b128 v[120:123], v81 offset:32512
	ds_load_b128 v[124:127], v80 offset:16128
	ds_store_2addr_stride64_b32 v3, v103, v102 offset1:2
	ds_store_2addr_stride64_b32 v3, v101, v100 offset0:4 offset1:6
	ds_store_2addr_stride64_b32 v3, v107, v106 offset0:8 offset1:10
	;; [unrolled: 1-line block ×5, first 2 shown]
	ds_store_b32 v4, v111 offset:2048
	ds_store_2addr_stride64_b32 v3, v110, v109 offset0:74 offset1:76
	ds_store_b32 v3, v108 offset:19968
	s_waitcnt lgkmcnt(11)
	v_dot2acc_f32_f16 v79, v112, v116
	v_dual_dot2acc_f32_f16 v78, v112, v117 :: v_dual_dot2acc_f32_f16 v31, v115, v118
	v_dot2acc_f32_f16 v50, v112, v118
	v_dot2acc_f32_f16 v49, v112, v119
	;; [unrolled: 1-line block ×5, first 2 shown]
	s_waitcnt lgkmcnt(10)
	v_dual_dot2acc_f32_f16 v45, v112, v122 :: v_dual_dot2acc_f32_f16 v40, v113, v119
	v_dot2acc_f32_f16 v69, v114, v120
	v_dot2acc_f32_f16 v71, v114, v116
	v_dual_dot2acc_f32_f16 v70, v114, v117 :: v_dual_dot2acc_f32_f16 v43, v113, v123
	v_dual_dot2acc_f32_f16 v38, v114, v118 :: v_dual_dot2acc_f32_f16 v65, v115, v120
	v_dot2acc_f32_f16 v39, v114, v119
	v_dot2acc_f32_f16 v67, v115, v116
	v_dual_dot2acc_f32_f16 v66, v115, v117 :: v_dual_dot2acc_f32_f16 v37, v114, v122
	s_waitcnt lgkmcnt(9)
	v_dual_dot2acc_f32_f16 v30, v115, v119 :: v_dual_dot2acc_f32_f16 v63, v124, v116
	v_dot2acc_f32_f16 v77, v112, v120
	v_dual_dot2acc_f32_f16 v76, v112, v121 :: v_dual_dot2acc_f32_f16 v35, v115, v122
	v_dual_dot2acc_f32_f16 v44, v112, v123 :: v_dual_dot2acc_f32_f16 v59, v125, v116
	v_dot2acc_f32_f16 v73, v113, v120
	v_dual_dot2acc_f32_f16 v72, v113, v121 :: v_dual_dot2acc_f32_f16 v17, v124, v118
	v_dual_dot2acc_f32_f16 v42, v113, v122 :: v_dual_dot2acc_f32_f16 v51, v126, v117
	v_dual_dot2acc_f32_f16 v68, v114, v121 :: v_dual_dot2acc_f32_f16 v23, v125, v118
	v_dual_dot2acc_f32_f16 v36, v114, v123 :: v_dual_dot2acc_f32_f16 v61, v124, v120
	v_dual_dot2acc_f32_f16 v64, v115, v121 :: v_dual_dot2acc_f32_f16 v25, v126, v118
	v_dual_dot2acc_f32_f16 v34, v115, v123 :: v_dual_dot2acc_f32_f16 v57, v125, v120
	v_dual_dot2acc_f32_f16 v62, v124, v117 :: v_dual_dot2acc_f32_f16 v33, v127, v119
	v_dual_dot2acc_f32_f16 v16, v124, v119 :: v_dual_dot2acc_f32_f16 v53, v125, v121
	v_dual_dot2acc_f32_f16 v58, v125, v117 :: v_dual_dot2acc_f32_f16 v19, v124, v123
	v_dual_dot2acc_f32_f16 v22, v125, v119 :: v_dual_dot2acc_f32_f16 v47, v126, v121
	v_dual_dot2acc_f32_f16 v52, v126, v116 :: v_dual_dot2acc_f32_f16 v21, v125, v122
	v_dual_dot2acc_f32_f16 v24, v126, v119 :: v_dual_dot2acc_f32_f16 v55, v127, v120
	v_dual_dot2acc_f32_f16 v46, v127, v116 :: v_dual_dot2acc_f32_f16 v27, v126, v122
	v_dot2acc_f32_f16 v54, v127, v117
	v_dot2acc_f32_f16 v32, v127, v118
	v_dual_dot2acc_f32_f16 v60, v124, v121 :: v_dual_dot2acc_f32_f16 v29, v127, v123
	v_dot2acc_f32_f16 v18, v124, v122
	v_dot2acc_f32_f16 v20, v125, v123
	;; [unrolled: 1-line block ×6, first 2 shown]
	s_cbranch_scc1 .LBB6_1
; %bb.2:
	s_waitcnt lgkmcnt(0)
	s_barrier
	buffer_gl0_inv
	ds_load_b128 v[0:3], v80
	ds_load_b128 v[4:7], v81 offset:16384
	ds_load_b128 v[8:11], v81 offset:16640
	;; [unrolled: 1-line block ×5, first 2 shown]
	v_lshl_add_u32 v83, s59, 7, v83
	s_load_b64 s[0:1], s[0:1], 0x10
	v_lshl_add_u32 v82, s60, 7, v82
	s_lshl_b64 s[2:3], s[22:23], 1
	s_mul_i32 s6, s20, s63
	s_mul_hi_u32 s7, s20, s62
	s_add_u32 s4, s44, s2
	s_mul_i32 s8, s21, s62
	s_addc_u32 s5, s45, s3
	s_add_i32 s3, s7, s6
	s_mul_i32 s2, s20, s62
	s_add_i32 s3, s3, s8
	v_cmp_gt_i32_e32 vcc_lo, s58, v82
	s_lshl_b64 s[2:3], s[2:3], 1
	s_waitcnt lgkmcnt(0)
	v_dual_dot2acc_f32_f16 v79, v0, v4 :: v_dual_dot2acc_f32_f16 v74, v1, v5
	v_dual_dot2acc_f32_f16 v78, v0, v5 :: v_dual_dot2acc_f32_f16 v75, v1, v4
	;; [unrolled: 1-line block ×16, first 2 shown]
	ds_load_b128 v[0:3], v80 offset:512
	v_dual_dot2acc_f32_f16 v63, v12, v4 :: v_dual_dot2acc_f32_f16 v58, v13, v5
	v_dual_dot2acc_f32_f16 v62, v12, v5 :: v_dual_dot2acc_f32_f16 v59, v13, v4
	;; [unrolled: 1-line block ×15, first 2 shown]
	ds_load_b128 v[4:7], v81 offset:17152
	s_waitcnt lgkmcnt(1)
	v_dual_dot2acc_f32_f16 v28, v15, v10 :: v_dual_dot2acc_f32_f16 v79, v0, v84
	v_dual_dot2acc_f32_f16 v29, v15, v11 :: v_dual_dot2acc_f32_f16 v78, v0, v85
	ds_load_b128 v[8:11], v80 offset:768
	v_dual_dot2acc_f32_f16 v50, v0, v86 :: v_dual_dot2acc_f32_f16 v75, v1, v84
	v_dual_dot2acc_f32_f16 v49, v0, v87 :: v_dual_dot2acc_f32_f16 v74, v1, v85
	v_dual_dot2acc_f32_f16 v41, v1, v86 :: v_dual_dot2acc_f32_f16 v70, v2, v85
	v_dual_dot2acc_f32_f16 v40, v1, v87 :: v_dual_dot2acc_f32_f16 v71, v2, v84
	v_dual_dot2acc_f32_f16 v38, v2, v86 :: v_dual_dot2acc_f32_f16 v67, v3, v84
	v_dual_dot2acc_f32_f16 v39, v2, v87 :: v_dual_dot2acc_f32_f16 v66, v3, v85
	ds_load_b128 v[12:15], v81 offset:17408
	s_waitcnt lgkmcnt(2)
	v_dual_dot2acc_f32_f16 v31, v3, v86 :: v_dual_dot2acc_f32_f16 v76, v0, v5
	v_dual_dot2acc_f32_f16 v30, v3, v87 :: v_dual_dot2acc_f32_f16 v77, v0, v4
	v_dual_dot2acc_f32_f16 v45, v0, v6 :: v_dual_dot2acc_f32_f16 v72, v1, v5
	v_dual_dot2acc_f32_f16 v44, v0, v7 :: v_dual_dot2acc_f32_f16 v73, v1, v4
	v_dual_dot2acc_f32_f16 v42, v1, v6 :: v_dual_dot2acc_f32_f16 v69, v2, v4
	v_dual_dot2acc_f32_f16 v43, v1, v7 :: v_dual_dot2acc_f32_f16 v68, v2, v5
	v_dual_dot2acc_f32_f16 v37, v2, v6 :: v_dual_dot2acc_f32_f16 v64, v3, v5
	v_dual_dot2acc_f32_f16 v36, v2, v7 :: v_dual_dot2acc_f32_f16 v65, v3, v4
	v_dot2acc_f32_f16 v35, v3, v6
	v_dot2acc_f32_f16 v34, v3, v7
	ds_load_b128 v[0:3], v80 offset:1024
	s_waitcnt lgkmcnt(2)
	v_dot2acc_f32_f16 v63, v8, v84
	v_dot2acc_f32_f16 v62, v8, v85
	v_dual_dot2acc_f32_f16 v17, v8, v86 :: v_dual_dot2acc_f32_f16 v58, v9, v85
	v_dual_dot2acc_f32_f16 v16, v8, v87 :: v_dual_dot2acc_f32_f16 v59, v9, v84
	v_dual_dot2acc_f32_f16 v23, v9, v86 :: v_dual_dot2acc_f32_f16 v52, v10, v84
	v_dual_dot2acc_f32_f16 v22, v9, v87 :: v_dual_dot2acc_f32_f16 v51, v10, v85
	v_dual_dot2acc_f32_f16 v25, v10, v86 :: v_dual_dot2acc_f32_f16 v46, v11, v84
	v_dual_dot2acc_f32_f16 v24, v10, v87 :: v_dual_dot2acc_f32_f16 v61, v8, v4
	v_dual_dot2acc_f32_f16 v54, v11, v85 :: v_dual_dot2acc_f32_f16 v19, v8, v7
	v_dual_dot2acc_f32_f16 v32, v11, v86 :: v_dual_dot2acc_f32_f16 v57, v9, v4
	v_dual_dot2acc_f32_f16 v33, v11, v87 :: v_dual_dot2acc_f32_f16 v60, v8, v5
	v_dual_dot2acc_f32_f16 v18, v8, v6 :: v_dual_dot2acc_f32_f16 v53, v9, v5
	v_dual_dot2acc_f32_f16 v21, v9, v6 :: v_dual_dot2acc_f32_f16 v48, v10, v4
	v_dual_dot2acc_f32_f16 v20, v9, v7 :: v_dual_dot2acc_f32_f16 v47, v10, v5
	v_dual_dot2acc_f32_f16 v27, v10, v6 :: v_dual_dot2acc_f32_f16 v56, v11, v5
	v_dual_dot2acc_f32_f16 v26, v10, v7 :: v_dual_dot2acc_f32_f16 v55, v11, v4
	ds_load_b128 v[84:87], v81 offset:17664
	s_waitcnt lgkmcnt(1)
	v_dual_dot2acc_f32_f16 v28, v11, v6 :: v_dual_dot2acc_f32_f16 v79, v0, v12
	v_dual_dot2acc_f32_f16 v29, v11, v7 :: v_dual_dot2acc_f32_f16 v78, v0, v13
	ds_load_b128 v[4:7], v80 offset:1280
	v_dual_dot2acc_f32_f16 v50, v0, v14 :: v_dual_dot2acc_f32_f16 v75, v1, v12
	v_dual_dot2acc_f32_f16 v49, v0, v15 :: v_dual_dot2acc_f32_f16 v74, v1, v13
	v_dual_dot2acc_f32_f16 v41, v1, v14 :: v_dual_dot2acc_f32_f16 v70, v2, v13
	v_dual_dot2acc_f32_f16 v40, v1, v15 :: v_dual_dot2acc_f32_f16 v71, v2, v12
	v_dual_dot2acc_f32_f16 v38, v2, v14 :: v_dual_dot2acc_f32_f16 v67, v3, v12
	v_dual_dot2acc_f32_f16 v39, v2, v15 :: v_dual_dot2acc_f32_f16 v66, v3, v13
	ds_load_b128 v[8:11], v81 offset:17920
	s_waitcnt lgkmcnt(2)
	v_dual_dot2acc_f32_f16 v31, v3, v14 :: v_dual_dot2acc_f32_f16 v76, v0, v85
	v_dual_dot2acc_f32_f16 v30, v3, v15 :: v_dual_dot2acc_f32_f16 v77, v0, v84
	v_dual_dot2acc_f32_f16 v45, v0, v86 :: v_dual_dot2acc_f32_f16 v72, v1, v85
	v_dual_dot2acc_f32_f16 v44, v0, v87 :: v_dual_dot2acc_f32_f16 v73, v1, v84
	v_dual_dot2acc_f32_f16 v42, v1, v86 :: v_dual_dot2acc_f32_f16 v69, v2, v84
	v_dual_dot2acc_f32_f16 v43, v1, v87 :: v_dual_dot2acc_f32_f16 v68, v2, v85
	v_dual_dot2acc_f32_f16 v37, v2, v86 :: v_dual_dot2acc_f32_f16 v64, v3, v85
	v_dual_dot2acc_f32_f16 v36, v2, v87 :: v_dual_dot2acc_f32_f16 v65, v3, v84
	v_dot2acc_f32_f16 v35, v3, v86
	v_dot2acc_f32_f16 v34, v3, v87
	ds_load_b128 v[0:3], v80 offset:1536
	s_waitcnt lgkmcnt(2)
	v_dot2acc_f32_f16 v63, v4, v12
	v_dot2acc_f32_f16 v62, v4, v13
	v_dual_dot2acc_f32_f16 v17, v4, v14 :: v_dual_dot2acc_f32_f16 v58, v5, v13
	v_dual_dot2acc_f32_f16 v16, v4, v15 :: v_dual_dot2acc_f32_f16 v59, v5, v12
	v_dual_dot2acc_f32_f16 v23, v5, v14 :: v_dual_dot2acc_f32_f16 v52, v6, v12
	v_dual_dot2acc_f32_f16 v22, v5, v15 :: v_dual_dot2acc_f32_f16 v51, v6, v13
	v_dual_dot2acc_f32_f16 v25, v6, v14 :: v_dual_dot2acc_f32_f16 v46, v7, v12
	v_dual_dot2acc_f32_f16 v24, v6, v15 :: v_dual_dot2acc_f32_f16 v61, v4, v84
	v_dual_dot2acc_f32_f16 v54, v7, v13 :: v_dual_dot2acc_f32_f16 v19, v4, v87
	v_dual_dot2acc_f32_f16 v32, v7, v14 :: v_dual_dot2acc_f32_f16 v57, v5, v84
	v_dual_dot2acc_f32_f16 v33, v7, v15 :: v_dual_dot2acc_f32_f16 v60, v4, v85
	v_dual_dot2acc_f32_f16 v18, v4, v86 :: v_dual_dot2acc_f32_f16 v53, v5, v85
	v_dual_dot2acc_f32_f16 v21, v5, v86 :: v_dual_dot2acc_f32_f16 v48, v6, v84
	v_dual_dot2acc_f32_f16 v20, v5, v87 :: v_dual_dot2acc_f32_f16 v47, v6, v85
	v_dual_dot2acc_f32_f16 v27, v6, v86 :: v_dual_dot2acc_f32_f16 v56, v7, v85
	v_dual_dot2acc_f32_f16 v26, v6, v87 :: v_dual_dot2acc_f32_f16 v55, v7, v84
	;; [unrolled: 41-line block ×8, first 2 shown]
	ds_load_b128 v[12:15], v81 offset:21248
	s_waitcnt lgkmcnt(1)
	v_dual_dot2acc_f32_f16 v28, v7, v86 :: v_dual_dot2acc_f32_f16 v79, v0, v8
	v_dual_dot2acc_f32_f16 v29, v7, v87 :: v_dual_dot2acc_f32_f16 v78, v0, v9
	ds_load_b128 v[4:7], v80 offset:4864
	v_dual_dot2acc_f32_f16 v50, v0, v10 :: v_dual_dot2acc_f32_f16 v75, v1, v8
	v_dual_dot2acc_f32_f16 v49, v0, v11 :: v_dual_dot2acc_f32_f16 v74, v1, v9
	v_dual_dot2acc_f32_f16 v41, v1, v10 :: v_dual_dot2acc_f32_f16 v70, v2, v9
	v_dual_dot2acc_f32_f16 v40, v1, v11 :: v_dual_dot2acc_f32_f16 v71, v2, v8
	v_dual_dot2acc_f32_f16 v38, v2, v10 :: v_dual_dot2acc_f32_f16 v67, v3, v8
	v_dual_dot2acc_f32_f16 v39, v2, v11 :: v_dual_dot2acc_f32_f16 v66, v3, v9
	ds_load_b128 v[84:87], v81 offset:21504
	s_waitcnt lgkmcnt(2)
	v_dual_dot2acc_f32_f16 v31, v3, v10 :: v_dual_dot2acc_f32_f16 v76, v0, v13
	v_dual_dot2acc_f32_f16 v30, v3, v11 :: v_dual_dot2acc_f32_f16 v77, v0, v12
	;; [unrolled: 1-line block ×8, first 2 shown]
	v_dot2acc_f32_f16 v35, v3, v14
	v_dot2acc_f32_f16 v34, v3, v15
	ds_load_b128 v[0:3], v80 offset:5120
	s_waitcnt lgkmcnt(2)
	v_dot2acc_f32_f16 v63, v4, v8
	v_dot2acc_f32_f16 v62, v4, v9
	v_dual_dot2acc_f32_f16 v17, v4, v10 :: v_dual_dot2acc_f32_f16 v58, v5, v9
	v_dual_dot2acc_f32_f16 v16, v4, v11 :: v_dual_dot2acc_f32_f16 v59, v5, v8
	;; [unrolled: 1-line block ×9, first 2 shown]
	ds_load_b128 v[8:11], v81 offset:21760
	v_dual_dot2acc_f32_f16 v18, v4, v14 :: v_dual_dot2acc_f32_f16 v53, v5, v13
	v_dual_dot2acc_f32_f16 v21, v5, v14 :: v_dual_dot2acc_f32_f16 v48, v6, v12
	;; [unrolled: 1-line block ×5, first 2 shown]
	s_waitcnt lgkmcnt(1)
	v_dual_dot2acc_f32_f16 v28, v7, v14 :: v_dual_dot2acc_f32_f16 v79, v0, v84
	v_dual_dot2acc_f32_f16 v29, v7, v15 :: v_dual_dot2acc_f32_f16 v78, v0, v85
	;; [unrolled: 1-line block ×8, first 2 shown]
	ds_load_b128 v[12:15], v81 offset:22016
	s_waitcnt lgkmcnt(1)
	v_dual_dot2acc_f32_f16 v31, v3, v86 :: v_dual_dot2acc_f32_f16 v76, v0, v9
	v_dual_dot2acc_f32_f16 v30, v3, v87 :: v_dual_dot2acc_f32_f16 v77, v0, v8
	v_dual_dot2acc_f32_f16 v45, v0, v10 :: v_dual_dot2acc_f32_f16 v72, v1, v9
	v_dual_dot2acc_f32_f16 v44, v0, v11 :: v_dual_dot2acc_f32_f16 v73, v1, v8
	v_dual_dot2acc_f32_f16 v42, v1, v10 :: v_dual_dot2acc_f32_f16 v69, v2, v8
	v_dual_dot2acc_f32_f16 v43, v1, v11 :: v_dual_dot2acc_f32_f16 v68, v2, v9
	v_dual_dot2acc_f32_f16 v37, v2, v10 :: v_dual_dot2acc_f32_f16 v64, v3, v9
	v_dual_dot2acc_f32_f16 v36, v2, v11 :: v_dual_dot2acc_f32_f16 v65, v3, v8
	v_dot2acc_f32_f16 v35, v3, v10
	v_dot2acc_f32_f16 v34, v3, v11
	ds_load_b128 v[0:3], v80 offset:5632
	v_dual_dot2acc_f32_f16 v63, v88, v84 :: v_dual_dot2acc_f32_f16 v24, v90, v87
	v_dual_dot2acc_f32_f16 v61, v88, v8 :: v_dual_dot2acc_f32_f16 v54, v91, v85
	;; [unrolled: 1-line block ×3, first 2 shown]
	v_dot2acc_f32_f16 v57, v89, v8
	v_dual_dot2acc_f32_f16 v33, v91, v87 :: v_dual_dot2acc_f32_f16 v60, v88, v9
	v_dual_dot2acc_f32_f16 v18, v88, v10 :: v_dual_dot2acc_f32_f16 v53, v89, v9
	;; [unrolled: 1-line block ×6, first 2 shown]
	ds_load_b128 v[4:7], v81 offset:22272
	s_waitcnt lgkmcnt(1)
	v_dual_dot2acc_f32_f16 v28, v91, v10 :: v_dual_dot2acc_f32_f16 v79, v0, v12
	v_dual_dot2acc_f32_f16 v29, v91, v11 :: v_dual_dot2acc_f32_f16 v78, v0, v13
	ds_load_b128 v[8:11], v80 offset:5888
	v_dual_dot2acc_f32_f16 v16, v88, v87 :: v_dual_dot2acc_f32_f16 v59, v89, v84
	v_dual_dot2acc_f32_f16 v23, v89, v86 :: v_dual_dot2acc_f32_f16 v52, v90, v84
	;; [unrolled: 1-line block ×3, first 2 shown]
	v_mul_lo_u32 v84, v83, s40
	v_dot2acc_f32_f16 v62, v88, v85
	v_dual_dot2acc_f32_f16 v17, v88, v86 :: v_dual_dot2acc_f32_f16 v58, v89, v85
	v_dual_dot2acc_f32_f16 v22, v89, v87 :: v_dual_dot2acc_f32_f16 v51, v90, v85
	;; [unrolled: 1-line block ×3, first 2 shown]
	v_mad_u64_u32 v[85:86], null, v82, s41, v[84:85]
	v_dual_dot2acc_f32_f16 v49, v0, v15 :: v_dual_dot2acc_f32_f16 v74, v1, v13
	v_dual_dot2acc_f32_f16 v41, v1, v14 :: v_dual_dot2acc_f32_f16 v70, v2, v13
	;; [unrolled: 1-line block ×5, first 2 shown]
	s_waitcnt lgkmcnt(1)
	v_dual_dot2acc_f32_f16 v31, v3, v14 :: v_dual_dot2acc_f32_f16 v76, v0, v5
	v_dual_dot2acc_f32_f16 v30, v3, v15 :: v_dual_dot2acc_f32_f16 v77, v0, v4
	;; [unrolled: 1-line block ×8, first 2 shown]
	v_dot2acc_f32_f16 v35, v3, v6
	v_dot2acc_f32_f16 v34, v3, v7
	ds_load_b128 v[0:3], v80 offset:6144
	s_waitcnt lgkmcnt(1)
	v_dot2acc_f32_f16 v63, v8, v12
	v_dot2acc_f32_f16 v62, v8, v13
	v_dual_dot2acc_f32_f16 v17, v8, v14 :: v_dual_dot2acc_f32_f16 v58, v9, v13
	v_dual_dot2acc_f32_f16 v16, v8, v15 :: v_dual_dot2acc_f32_f16 v59, v9, v12
	;; [unrolled: 1-line block ×9, first 2 shown]
	ds_load_b128 v[12:15], v81 offset:22528
	v_dual_dot2acc_f32_f16 v18, v8, v6 :: v_dual_dot2acc_f32_f16 v53, v9, v5
	v_dual_dot2acc_f32_f16 v21, v9, v6 :: v_dual_lshlrev_b32 v8, 1, v85
	s_add_u32 s0, s0, s2
	s_addc_u32 s1, s1, s3
	s_lshl_b32 s2, s42, 1
	s_mov_b32 s3, 0x31004000
	s_lshl_b32 s6, s41, 6
	buffer_load_b64 v[88:89], v8, s[0:3], 0 offen
	v_add_lshl_u32 v8, v85, s6, 1
	v_add_nc_u32_e32 v84, s40, v85
	v_dual_dot2acc_f32_f16 v20, v9, v7 :: v_dual_dot2acc_f32_f16 v47, v10, v5
	v_dual_dot2acc_f32_f16 v48, v10, v4 :: v_dual_dot2acc_f32_f16 v29, v11, v7
	buffer_load_b64 v[90:91], v8, s[0:3], 0 offen
	v_dual_dot2acc_f32_f16 v27, v10, v6 :: v_dual_dot2acc_f32_f16 v56, v11, v5
	s_waitcnt lgkmcnt(0)
	v_dual_dot2acc_f32_f16 v79, v0, v12 :: v_dual_dot2acc_f32_f16 v28, v11, v6
	v_dual_dot2acc_f32_f16 v26, v10, v7 :: v_dual_lshlrev_b32 v85, 1, v84
	v_dot2acc_f32_f16 v55, v11, v4
	ds_load_b128 v[4:7], v81 offset:22784
	ds_load_b128 v[8:11], v80 offset:6400
	v_dot2acc_f32_f16 v39, v2, v15
	buffer_load_b64 v[92:93], v85, s[0:3], 0 offen
	v_add_lshl_u32 v85, v84, s6, 1
	v_add_nc_u32_e32 v84, s40, v84
	v_dot2acc_f32_f16 v66, v3, v13
	v_dual_dot2acc_f32_f16 v78, v0, v13 :: v_dual_dot2acc_f32_f16 v75, v1, v12
	buffer_load_b64 v[94:95], v85, s[0:3], 0 offen
	v_dual_dot2acc_f32_f16 v50, v0, v14 :: v_dual_lshlrev_b32 v85, 1, v84
	v_dot2acc_f32_f16 v71, v2, v12
	v_dual_dot2acc_f32_f16 v49, v0, v15 :: v_dual_dot2acc_f32_f16 v74, v1, v13
	buffer_load_b64 v[96:97], v85, s[0:3], 0 offen
	v_dot2acc_f32_f16 v38, v2, v14
	v_dot2acc_f32_f16 v31, v3, v14
	v_dual_dot2acc_f32_f16 v30, v3, v15 :: v_dual_dot2acc_f32_f16 v41, v1, v14
	s_waitcnt lgkmcnt(1)
	v_dual_dot2acc_f32_f16 v70, v2, v13 :: v_dual_dot2acc_f32_f16 v77, v0, v4
	v_dot2acc_f32_f16 v76, v0, v5
	v_dot2acc_f32_f16 v45, v0, v6
	v_dual_dot2acc_f32_f16 v44, v0, v7 :: v_dual_dot2acc_f32_f16 v73, v1, v4
	v_add_lshl_u32 v0, v84, s6, 1
	s_waitcnt lgkmcnt(0)
	v_dual_dot2acc_f32_f16 v17, v8, v14 :: v_dual_add_nc_u32 v84, s40, v84
	v_dot2acc_f32_f16 v62, v8, v13
	v_dual_dot2acc_f32_f16 v34, v3, v7 :: v_dual_dot2acc_f32_f16 v63, v8, v12
	buffer_load_b64 v[98:99], v0, s[0:3], 0 offen
	v_dual_dot2acc_f32_f16 v16, v8, v15 :: v_dual_lshlrev_b32 v85, 1, v84
	v_dual_dot2acc_f32_f16 v59, v9, v12 :: v_dual_dot2acc_f32_f16 v24, v10, v15
	v_dot2acc_f32_f16 v61, v8, v4
	buffer_load_b64 v[100:101], v85, s[0:3], 0 offen
	v_add_lshl_u32 v85, v84, s6, 1
	v_dual_dot2acc_f32_f16 v46, v11, v12 :: v_dual_dot2acc_f32_f16 v19, v8, v7
	v_dual_dot2acc_f32_f16 v60, v8, v5 :: v_dual_dot2acc_f32_f16 v21, v9, v6
	buffer_load_b64 v[102:103], v85, s[0:3], 0 offen
	v_mad_u64_u32 v[85:86], null, s40, 61, v[84:85]
	v_dual_dot2acc_f32_f16 v33, v11, v15 :: v_dual_dot2acc_f32_f16 v18, v8, v6
	v_dual_dot2acc_f32_f16 v47, v10, v5 :: v_dual_dot2acc_f32_f16 v40, v1, v15
	;; [unrolled: 1-line block ×3, first 2 shown]
	s_delay_alu instid0(VALU_DEP_4)
	v_dual_dot2acc_f32_f16 v69, v2, v4 :: v_dual_lshlrev_b32 v84, 1, v85
	v_add_lshl_u32 v8, v85, s6, 1
	v_dual_dot2acc_f32_f16 v42, v1, v6 :: v_dual_dot2acc_f32_f16 v65, v3, v4
	v_dual_dot2acc_f32_f16 v43, v1, v7 :: v_dual_dot2acc_f32_f16 v68, v2, v5
	;; [unrolled: 1-line block ×9, first 2 shown]
	ds_load_b128 v[12:15], v81 offset:23040
	s_clause 0x1
	buffer_load_b64 v[104:105], v84, s[0:3], 0 offen
	buffer_load_b64 v[106:107], v8, s[0:3], 0 offen
	ds_load_b128 v[0:3], v80 offset:6656
	v_dual_dot2acc_f32_f16 v20, v9, v7 :: v_dual_dot2acc_f32_f16 v27, v10, v6
	v_dual_dot2acc_f32_f16 v48, v10, v4 :: v_dual_dot2acc_f32_f16 v29, v11, v7
	;; [unrolled: 1-line block ×3, first 2 shown]
	v_dot2acc_f32_f16 v56, v11, v5
	v_dot2acc_f32_f16 v28, v11, v6
	ds_load_b128 v[4:7], v81 offset:23296
	ds_load_b128 v[8:11], v80 offset:6912
	v_add_nc_u32_e32 v84, s40, v85
	s_mov_b32 s7, s3
	s_add_i32 s8, s15, s14
	s_waitcnt lgkmcnt(2)
	v_dot2acc_f32_f16 v79, v0, v12
	v_lshlrev_b32_e32 v85, 1, v84
	v_dual_dot2acc_f32_f16 v31, v3, v14 :: v_dual_dot2acc_f32_f16 v78, v0, v13
	v_dual_dot2acc_f32_f16 v75, v1, v12 :: v_dual_dot2acc_f32_f16 v50, v0, v14
	v_dot2acc_f32_f16 v71, v2, v12
	buffer_load_b64 v[108:109], v85, s[0:3], 0 offen
	v_add_lshl_u32 v85, v84, s6, 1
	v_add_nc_u32_e32 v84, s40, v84
	v_dual_dot2acc_f32_f16 v38, v2, v14 :: v_dual_dot2acc_f32_f16 v49, v0, v15
	s_waitcnt lgkmcnt(1)
	v_dual_dot2acc_f32_f16 v66, v3, v13 :: v_dual_dot2acc_f32_f16 v77, v0, v4
	buffer_load_b64 v[110:111], v85, s[0:3], 0 offen
	v_dual_dot2acc_f32_f16 v30, v3, v15 :: v_dual_lshlrev_b32 v85, 1, v84
	v_dot2acc_f32_f16 v45, v0, v6
	v_dual_dot2acc_f32_f16 v76, v0, v5 :: v_dual_dot2acc_f32_f16 v73, v1, v4
	buffer_load_b64 v[112:113], v85, s[0:3], 0 offen
	v_dual_dot2acc_f32_f16 v44, v0, v7 :: v_dual_dot2acc_f32_f16 v69, v2, v4
	v_add_lshl_u32 v0, v84, s6, 1
	s_waitcnt lgkmcnt(0)
	v_dual_dot2acc_f32_f16 v17, v8, v14 :: v_dual_add_nc_u32 v84, s40, v84
	v_dot2acc_f32_f16 v34, v3, v7
	v_dual_dot2acc_f32_f16 v74, v1, v13 :: v_dual_dot2acc_f32_f16 v39, v2, v15
	buffer_load_b64 v[114:115], v0, s[0:3], 0 offen
	v_lshlrev_b32_e32 v85, 1, v84
	v_add_lshl_u32 v84, v84, s6, 1
	v_dual_dot2acc_f32_f16 v41, v1, v14 :: v_dual_dot2acc_f32_f16 v70, v2, v13
	v_dual_dot2acc_f32_f16 v40, v1, v15 :: v_dual_dot2acc_f32_f16 v67, v3, v12
	s_clause 0x1
	buffer_load_b64 v[116:117], v85, s[0:3], 0 offen
	buffer_load_b64 v[118:119], v84, s[0:3], 0 offen
	v_dual_dot2acc_f32_f16 v72, v1, v5 :: v_dual_dot2acc_f32_f16 v37, v2, v6
	v_dual_dot2acc_f32_f16 v42, v1, v6 :: v_dual_dot2acc_f32_f16 v65, v3, v4
	;; [unrolled: 1-line block ×5, first 2 shown]
	ds_load_b128 v[0:3], v80 offset:7168
	v_dual_dot2acc_f32_f16 v62, v8, v13 :: v_dual_dot2acc_f32_f16 v59, v9, v12
	v_dual_dot2acc_f32_f16 v16, v8, v15 :: v_dual_dot2acc_f32_f16 v23, v9, v14
	;; [unrolled: 1-line block ×9, first 2 shown]
	ds_load_b128 v[84:87], v81 offset:23552
	ds_load_b128 v[12:15], v81 offset:23808
	v_dual_dot2acc_f32_f16 v60, v8, v5 :: v_dual_dot2acc_f32_f16 v21, v9, v6
	v_dual_dot2acc_f32_f16 v18, v8, v6 :: v_dual_dot2acc_f32_f16 v47, v10, v5
	;; [unrolled: 1-line block ×5, first 2 shown]
	v_dot2acc_f32_f16 v56, v11, v5
	v_dot2acc_f32_f16 v28, v11, v6
	ds_load_b128 v[4:7], v80 offset:7424
	ds_load_b128 v[8:11], v81 offset:24064
	v_cmp_gt_i32_e64 s0, s33, v83
	s_lshl_b32 s6, s34, 1
	s_waitcnt lgkmcnt(3)
	v_dot2acc_f32_f16 v79, v0, v84
	v_dual_dot2acc_f32_f16 v78, v0, v85 :: v_dual_dot2acc_f32_f16 v75, v1, v84
	v_dual_dot2acc_f32_f16 v50, v0, v86 :: v_dual_dot2acc_f32_f16 v71, v2, v84
	;; [unrolled: 1-line block ×3, first 2 shown]
	v_dot2acc_f32_f16 v39, v2, v87
	v_dual_dot2acc_f32_f16 v41, v1, v86 :: v_dual_dot2acc_f32_f16 v70, v2, v85
	v_dual_dot2acc_f32_f16 v40, v1, v87 :: v_dual_dot2acc_f32_f16 v67, v3, v84
	s_waitcnt lgkmcnt(2)
	v_dual_dot2acc_f32_f16 v38, v2, v86 :: v_dual_dot2acc_f32_f16 v77, v0, v12
	v_dual_dot2acc_f32_f16 v66, v3, v85 :: v_dual_dot2acc_f32_f16 v45, v0, v14
	;; [unrolled: 1-line block ×9, first 2 shown]
	s_waitcnt lgkmcnt(1)
	v_dual_dot2acc_f32_f16 v64, v3, v13 :: v_dual_dot2acc_f32_f16 v63, v4, v84
	v_dual_dot2acc_f32_f16 v34, v3, v15 :: v_dual_dot2acc_f32_f16 v17, v4, v86
	ds_load_b128 v[0:3], v80 offset:7680
	v_dual_dot2acc_f32_f16 v62, v4, v85 :: v_dual_dot2acc_f32_f16 v59, v5, v84
	v_dual_dot2acc_f32_f16 v16, v4, v87 :: v_dual_dot2acc_f32_f16 v23, v5, v86
	v_dual_dot2acc_f32_f16 v58, v5, v85 :: v_dual_dot2acc_f32_f16 v25, v6, v86
	v_dual_dot2acc_f32_f16 v22, v5, v87 :: v_dual_dot2acc_f32_f16 v51, v6, v85
	v_dual_dot2acc_f32_f16 v52, v6, v84 :: v_dual_dot2acc_f32_f16 v33, v7, v87
	v_dual_dot2acc_f32_f16 v24, v6, v87 :: v_dual_dot2acc_f32_f16 v61, v4, v12
	v_dual_dot2acc_f32_f16 v46, v7, v84 :: v_dual_dot2acc_f32_f16 v19, v4, v15
	v_dual_dot2acc_f32_f16 v54, v7, v85 :: v_dual_dot2acc_f32_f16 v57, v5, v12
	v_dual_dot2acc_f32_f16 v32, v7, v86 :: v_dual_dot2acc_f32_f16 v53, v5, v13
	v_dual_dot2acc_f32_f16 v60, v4, v13 :: v_dual_dot2acc_f32_f16 v21, v5, v14
	v_dual_dot2acc_f32_f16 v18, v4, v14 :: v_dual_dot2acc_f32_f16 v47, v6, v13
	v_dual_dot2acc_f32_f16 v20, v5, v15 :: v_dual_dot2acc_f32_f16 v27, v6, v14
	v_dual_dot2acc_f32_f16 v48, v6, v12 :: v_dual_dot2acc_f32_f16 v29, v7, v15
	v_dual_dot2acc_f32_f16 v26, v6, v15 :: v_dual_dot2acc_f32_f16 v55, v7, v12
	ds_load_b128 v[84:87], v81 offset:24320
	v_dot2acc_f32_f16 v56, v7, v13
	v_dot2acc_f32_f16 v28, v7, v14
	ds_load_b128 v[4:7], v80 offset:7936
	s_waitcnt lgkmcnt(2)
	v_dot2acc_f32_f16 v49, v0, v11
	v_add_nc_u32_e32 v15, 64, v82
	s_and_b32 s1, s0, vcc_lo
	v_dot2acc_f32_f16 v79, v0, v8
	v_dual_dot2acc_f32_f16 v78, v0, v9 :: v_dual_dot2acc_f32_f16 v75, v1, v8
	v_dual_dot2acc_f32_f16 v50, v0, v10 :: v_dual_dot2acc_f32_f16 v71, v2, v8
	v_dot2acc_f32_f16 v38, v2, v10
	v_dot2acc_f32_f16 v66, v3, v9
	v_dual_dot2acc_f32_f16 v31, v3, v10 :: v_dual_dot2acc_f32_f16 v74, v1, v9
	v_dot2acc_f32_f16 v39, v2, v11
	v_dual_dot2acc_f32_f16 v41, v1, v10 :: v_dual_dot2acc_f32_f16 v70, v2, v9
	v_or_b32_e32 v81, 1, v83
	s_waitcnt lgkmcnt(1)
	v_dot2acc_f32_f16 v77, v0, v84
	v_dot2acc_f32_f16 v76, v0, v85
	s_waitcnt lgkmcnt(0)
	v_dual_dot2acc_f32_f16 v45, v0, v86 :: v_dual_dot2acc_f32_f16 v48, v6, v84
	v_dual_dot2acc_f32_f16 v44, v0, v87 :: v_dual_dot2acc_f32_f16 v69, v2, v84
	;; [unrolled: 1-line block ×19, first 2 shown]
	s_waitcnt vmcnt(15)
	v_cndmask_b32_e64 v12, 0, v89, s1
	v_cndmask_b32_e64 v0, 0, v88, s1
	v_cmp_gt_i32_e64 s1, s58, v15
	v_or_b32_e32 v88, 3, v83
	v_dual_dot2acc_f32_f16 v20, v5, v87 :: v_dual_dot2acc_f32_f16 v27, v6, v86
	s_delay_alu instid0(VALU_DEP_4) | instskip(NEXT) | instid1(VALU_DEP_4)
	v_lshrrev_b32_e32 v1, 16, v0
	s_and_b32 s0, s0, s1
	v_cvt_f32_f16_e32 v0, v0
	s_waitcnt vmcnt(14)
	v_cndmask_b32_e64 v2, 0, v90, s0
	v_cndmask_b32_e64 v80, 0, v91, s0
	v_cmp_gt_i32_e64 s0, s33, v81
	v_cvt_f32_f16_e32 v1, v1
	v_dot2acc_f32_f16 v28, v7, v86
	v_cvt_f32_f16_e32 v3, v2
	v_lshrrev_b32_e32 v2, 16, v2
	v_dot2acc_f32_f16 v56, v7, v85
	s_and_b32 s2, s0, vcc_lo
	s_and_b32 s0, s0, s1
	v_dual_add_f32 v3, v77, v3 :: v_dual_add_f32 v0, v79, v0
	v_cvt_f32_f16_e32 v2, v2
	v_add_f32_e32 v1, v78, v1
	s_waitcnt vmcnt(13)
	v_cndmask_b32_e64 v4, 0, v92, s2
	v_max_f32_e32 v79, 0, v3
	v_dual_dot2acc_f32_f16 v29, v7, v87 :: v_dual_max_f32 v14, 0, v0
	v_add_f32_e32 v0, v76, v2
	s_waitcnt vmcnt(12)
	v_cndmask_b32_e64 v2, 0, v94, s0
	v_or_b32_e32 v85, 2, v83
	v_cndmask_b32_e64 v76, 0, v95, s0
	v_cndmask_b32_e64 v77, 0, v93, s2
	v_dual_dot2acc_f32_f16 v58, v5, v9 :: v_dual_dot2acc_f32_f16 v25, v6, v10
	v_cvt_f32_f16_e32 v3, v2
	v_max_f32_e32 v78, 0, v1
	v_lshrrev_b32_e32 v1, 16, v4
	v_cmp_gt_i32_e64 s0, s33, v85
	v_lshrrev_b32_e32 v2, 16, v2
	v_add_f32_e32 v3, v73, v3
	v_dual_dot2acc_f32_f16 v22, v5, v11 :: v_dual_dot2acc_f32_f16 v51, v6, v9
	v_cvt_f32_f16_e32 v1, v1
	s_and_b32 s2, s0, vcc_lo
	v_cvt_f32_f16_e32 v2, v2
	s_and_b32 s0, s0, s1
	s_waitcnt vmcnt(11)
	v_cndmask_b32_e64 v73, 0, v97, s2
	v_dual_add_f32 v1, v74, v1 :: v_dual_max_f32 v84, 0, v0
	v_cvt_f32_f16_e32 v0, v4
	v_cndmask_b32_e64 v4, 0, v96, s2
	v_dual_dot2acc_f32_f16 v52, v6, v8 :: v_dual_dot2acc_f32_f16 v33, v7, v11
	v_add_nc_u32_e32 v10, 0x42, v83
	s_delay_alu instid0(VALU_DEP_4) | instskip(NEXT) | instid1(VALU_DEP_4)
	v_dual_add_f32 v0, v75, v0 :: v_dual_max_f32 v75, 0, v1
	v_lshrrev_b32_e32 v1, 16, v4
	s_delay_alu instid0(VALU_DEP_1) | instskip(NEXT) | instid1(VALU_DEP_1)
	v_cvt_f32_f16_e32 v1, v1
	v_dual_add_f32 v1, v70, v1 :: v_dual_max_f32 v74, 0, v0
	v_add_f32_e32 v0, v72, v2
	s_waitcnt vmcnt(10)
	v_cndmask_b32_e64 v72, 0, v99, s0
	v_cndmask_b32_e64 v2, 0, v98, s0
	v_cmp_gt_i32_e64 s0, s33, v88
	v_dual_max_f32 v86, 0, v3 :: v_dual_max_f32 v87, 0, v0
	v_cvt_f32_f16_e32 v0, v4
	s_delay_alu instid0(VALU_DEP_4) | instskip(NEXT) | instid1(VALU_DEP_4)
	v_cvt_f32_f16_e32 v3, v2
	s_and_b32 s2, s0, vcc_lo
	v_lshrrev_b32_e32 v2, 16, v2
	s_waitcnt vmcnt(9)
	v_cndmask_b32_e64 v4, 0, v100, s2
	s_and_b32 s0, s0, s1
	v_dual_add_f32 v3, v69, v3 :: v_dual_add_f32 v0, v71, v0
	v_cvt_f32_f16_e32 v2, v2
	v_max_f32_e32 v71, 0, v1
	v_lshrrev_b32_e32 v1, 16, v4
	s_delay_alu instid0(VALU_DEP_4)
	v_max_f32_e32 v89, 0, v3
	v_cvt_f32_f16_e32 v3, v4
	v_max_f32_e32 v70, 0, v0
	v_cndmask_b32_e64 v69, 0, v101, s2
	v_cvt_f32_f16_e32 v1, v1
	v_add_f32_e32 v0, v68, v2
	s_waitcnt vmcnt(8)
	v_cndmask_b32_e64 v2, 0, v102, s0
	v_add_f32_e32 v3, v67, v3
	v_cndmask_b32_e64 v68, 0, v103, s0
	v_dual_add_f32 v5, v66, v1 :: v_dual_max_f32 v90, 0, v0
	s_delay_alu instid0(VALU_DEP_4) | instskip(SKIP_1) | instid1(VALU_DEP_2)
	v_cvt_f32_f16_e32 v4, v2
	v_lshrrev_b32_e32 v2, 16, v2
	v_add_f32_e32 v4, v65, v4
	v_add_nc_u32_e32 v0, 64, v83
	s_delay_alu instid0(VALU_DEP_3) | instskip(SKIP_1) | instid1(VALU_DEP_4)
	v_cvt_f32_f16_e32 v2, v2
	v_max_f32_e32 v65, 0, v3
	v_max_f32_e32 v67, 0, v4
	s_delay_alu instid0(VALU_DEP_4) | instskip(NEXT) | instid1(VALU_DEP_4)
	v_cmp_gt_i32_e64 s0, s33, v0
	v_add_f32_e32 v2, v64, v2
	v_add_nc_u32_e32 v4, 0x41, v83
	s_delay_alu instid0(VALU_DEP_3)
	s_and_b32 s2, s0, vcc_lo
	s_and_b32 s0, s0, s1
	s_waitcnt vmcnt(7)
	v_cndmask_b32_e64 v6, 0, v104, s2
	s_waitcnt vmcnt(6)
	v_cndmask_b32_e64 v7, 0, v106, s0
	v_max_f32_e32 v64, 0, v2
	v_cndmask_b32_e64 v1, 0, v105, s2
	v_lshrrev_b32_e32 v3, 16, v6
	v_cvt_f32_f16_e32 v2, v6
	v_cvt_f32_f16_e32 v6, v7
	v_lshrrev_b32_e32 v7, 16, v7
	s_delay_alu instid0(VALU_DEP_4) | instskip(NEXT) | instid1(VALU_DEP_4)
	v_cvt_f32_f16_e32 v3, v3
	v_add_f32_e32 v2, v63, v2
	s_delay_alu instid0(VALU_DEP_4) | instskip(NEXT) | instid1(VALU_DEP_4)
	v_add_f32_e32 v6, v61, v6
	v_cvt_f32_f16_e32 v7, v7
	v_max_f32_e32 v66, 0, v5
	v_cndmask_b32_e64 v5, 0, v107, s0
	v_cmp_gt_i32_e64 s0, s33, v4
	s_delay_alu instid0(VALU_DEP_4) | instskip(NEXT) | instid1(VALU_DEP_2)
	v_add_f32_e32 v7, v60, v7
	s_and_b32 s2, s0, vcc_lo
	s_and_b32 s0, s0, s1
	s_waitcnt vmcnt(5)
	v_cndmask_b32_e64 v9, 0, v108, s2
	s_waitcnt vmcnt(4)
	v_cndmask_b32_e64 v13, 0, v110, s0
	v_cndmask_b32_e64 v61, 0, v109, s2
	v_max_f32_e32 v7, 0, v7
	v_cvt_f32_f16_e32 v11, v9
	s_delay_alu instid0(VALU_DEP_2) | instskip(NEXT) | instid1(VALU_DEP_2)
	v_cvt_f16_f32_e32 v7, v7
	v_add_f32_e32 v11, v59, v11
	v_lshrrev_b32_e32 v59, 16, v13
	v_cvt_f32_f16_e32 v13, v13
	s_delay_alu instid0(VALU_DEP_1) | instskip(SKIP_1) | instid1(VALU_DEP_4)
	v_dual_add_f32 v13, v57, v13 :: v_dual_add_f32 v8, v62, v3
	v_max_f32_e32 v3, 0, v2
	v_cvt_f32_f16_e32 v57, v59
	s_delay_alu instid0(VALU_DEP_3) | instskip(SKIP_4) | instid1(VALU_DEP_4)
	v_dual_max_f32 v63, 0, v13 :: v_dual_max_f32 v2, 0, v8
	v_lshrrev_b32_e32 v8, 16, v9
	v_cndmask_b32_e64 v9, 0, v111, s0
	v_cmp_gt_i32_e64 s0, s33, v10
	v_cvt_f16_f32_e32 v3, v3
	v_cvt_f32_f16_e32 v8, v8
	s_delay_alu instid0(VALU_DEP_3)
	s_and_b32 s2, s0, vcc_lo
	s_and_b32 s0, s0, s1
	s_waitcnt vmcnt(3)
	v_cndmask_b32_e64 v62, 0, v112, s2
	v_add_f32_e32 v8, v58, v8
	v_max_f32_e32 v58, 0, v11
	v_cndmask_b32_e64 v60, 0, v113, s2
	s_lshl_b32 s2, s15, 6
	v_lshrrev_b32_e32 v11, 16, v62
	v_cvt_f32_f16_e32 v13, v62
	v_dual_max_f32 v59, 0, v8 :: v_dual_add_nc_u32 v62, 0x43, v83
	v_add_f32_e32 v8, v53, v57
	s_delay_alu instid0(VALU_DEP_4)
	v_cvt_f32_f16_e32 v11, v11
	s_waitcnt vmcnt(2)
	v_cndmask_b32_e64 v57, 0, v114, s0
	v_cndmask_b32_e64 v53, 0, v115, s0
	v_cmp_gt_i32_e64 s0, s33, v62
	v_add_f32_e32 v13, v52, v13
	v_dual_add_f32 v11, v51, v11 :: v_dual_max_f32 v6, 0, v6
	v_cvt_f32_f16_e32 v51, v57
	s_delay_alu instid0(VALU_DEP_4) | instskip(NEXT) | instid1(VALU_DEP_2)
	s_and_b32 vcc_lo, s0, vcc_lo
	v_dual_max_f32 v52, 0, v13 :: v_dual_max_f32 v91, 0, v11
	v_lshrrev_b32_e32 v11, 16, v57
	s_delay_alu instid0(VALU_DEP_3)
	v_add_f32_e32 v13, v48, v51
	s_waitcnt vmcnt(1)
	v_dual_cndmask_b32 v51, 0, v116 :: v_dual_cndmask_b32 v48, 0, v117
	s_and_b32 vcc_lo, s0, s1
	v_cvt_f32_f16_e32 v11, v11
	s_waitcnt vmcnt(0)
	v_dual_cndmask_b32 v57, 0, v119 :: v_dual_max_f32 v8, 0, v8
	v_cndmask_b32_e32 v92, 0, v118, vcc_lo
	v_cvt_f32_f16_e32 v93, v51
	v_add_f32_e32 v11, v47, v11
	v_lshrrev_b32_e32 v47, 16, v51
	v_max_f32_e32 v51, 0, v13
	v_cmp_gt_i32_e32 vcc_lo, s24, v82
	s_delay_alu instid0(VALU_DEP_4) | instskip(NEXT) | instid1(VALU_DEP_4)
	v_dual_add_f32 v46, v46, v93 :: v_dual_max_f32 v93, 0, v11
	v_cvt_f32_f16_e32 v11, v47
	v_cvt_f32_f16_e32 v47, v92
	v_cmp_gt_i32_e64 s1, s13, v83
	v_cvt_f16_f32_e32 v8, v8
	v_cvt_f16_f32_e32 v6, v6
	v_add_f32_e32 v54, v54, v11
	v_add_f32_e32 v47, v55, v47
	v_mul_lo_u32 v11, v83, s14
	s_and_b32 s0, s1, vcc_lo
	v_cvt_f16_f32_e32 v2, v2
	s_delay_alu instid0(VALU_DEP_3) | instskip(SKIP_3) | instid1(VALU_DEP_3)
	v_max_f32_e32 v47, 0, v47
	v_lshrrev_b32_e32 v13, 16, v92
	v_lshrrev_b32_e32 v92, 16, v12
	v_cvt_f32_f16_e32 v12, v12
	v_cvt_f32_f16_e32 v13, v13
	s_delay_alu instid0(VALU_DEP_3) | instskip(NEXT) | instid1(VALU_DEP_2)
	v_cvt_f32_f16_e32 v55, v92
	v_dual_add_f32 v50, v50, v12 :: v_dual_add_f32 v13, v56, v13
	s_delay_alu instid0(VALU_DEP_2) | instskip(SKIP_1) | instid1(VALU_DEP_3)
	v_dual_add_f32 v49, v49, v55 :: v_dual_max_f32 v46, 0, v46
	v_cvt_f32_f16_e32 v55, v77
	v_max_f32_e32 v56, 0, v13
	v_mad_u64_u32 v[12:13], null, v82, s15, v[11:12]
	v_cvt_f16_f32_e32 v11, v14
	v_dual_max_f32 v13, 0, v49 :: v_dual_max_f32 v14, 0, v50
	v_cvt_f16_f32_e32 v49, v78
	v_add_f32_e32 v41, v41, v55
	s_delay_alu instid0(VALU_DEP_3) | instskip(NEXT) | instid1(VALU_DEP_4)
	v_cvt_f16_f32_e32 v50, v13
	v_cvt_f16_f32_e32 v14, v14
	s_delay_alu instid0(VALU_DEP_4)
	v_pack_b32_f16 v13, v11, v49
	v_lshrrev_b32_e32 v11, 16, v80
	v_cndmask_b32_e64 v49, 0x80000000, 0, s0
	v_cmp_gt_i32_e64 s0, s24, v15
	v_pack_b32_f16 v14, v14, v50
	v_cvt_f32_f16_e32 v50, v80
	v_cvt_f32_f16_e32 v11, v11
	v_lshl_add_u32 v49, v12, 1, v49
	v_cvt_f16_f32_e32 v15, v84
	s_and_b32 s1, s1, s0
	s_delay_alu instid0(VALU_DEP_3)
	v_dual_add_f32 v11, v44, v11 :: v_dual_add_f32 v44, v45, v50
	buffer_store_b64 v[13:14], v49, s[4:7], 0 offen
	v_dual_max_f32 v54, 0, v54 :: v_dual_add_nc_u32 v45, s2, v12
	v_max_f32_e32 v11, 0, v11
	v_cvt_f32_f16_e32 v50, v76
	v_max_f32_e32 v14, 0, v44
	v_lshrrev_b32_e32 v44, 16, v76
	v_cvt_f16_f32_e32 v13, v79
	v_cvt_f16_f32_e32 v11, v11
	v_cndmask_b32_e64 v49, 0x80000000, 0, s1
	v_cvt_f16_f32_e32 v14, v14
	v_cvt_f32_f16_e32 v44, v44
	v_pack_b32_f16 v13, v13, v15
	v_cmp_gt_i32_e64 s1, s13, v81
	s_delay_alu instid0(VALU_DEP_4)
	v_pack_b32_f16 v14, v14, v11
	v_add_f32_e32 v11, v42, v50
	v_add_f32_e32 v15, v43, v44
	v_lshrrev_b32_e32 v42, 16, v77
	v_lshl_add_u32 v44, v45, 1, v49
	v_cvt_f16_f32_e32 v43, v86
	v_cvt_f16_f32_e32 v49, v87
	v_max_f32_e32 v15, 0, v15
	v_cvt_f32_f16_e32 v50, v42
	v_max_f32_e32 v11, 0, v11
	s_and_b32 s3, s1, s0
	v_pack_b32_f16 v42, v43, v49
	v_cvt_f16_f32_e32 v15, v15
	v_add_f32_e32 v40, v40, v50
	v_cvt_f16_f32_e32 v11, v11
	v_add_nc_u32_e32 v45, s14, v45
	v_cvt_f16_f32_e32 v49, v75
	v_lshrrev_b32_e32 v50, 16, v73
	s_and_b32 s1, s1, vcc_lo
	v_pack_b32_f16 v43, v11, v15
	v_dual_max_f32 v15, 0, v40 :: v_dual_max_f32 v40, 0, v41
	v_cndmask_b32_e64 v11, 0x80000000, 0, s3
	v_add_nc_u32_e32 v41, s14, v12
	v_cvt_f16_f32_e32 v12, v74
	s_delay_alu instid0(VALU_DEP_4)
	v_cvt_f16_f32_e32 v15, v15
	v_cvt_f16_f32_e32 v40, v40
	v_cndmask_b32_e64 v55, 0x80000000, 0, s1
	v_lshl_add_u32 v74, v45, 1, v11
	v_pack_b32_f16 v11, v12, v49
	buffer_store_b64 v[13:14], v44, s[4:7], 0 offen
	v_pack_b32_f16 v12, v40, v15
	v_cvt_f32_f16_e32 v15, v50
	v_cvt_f32_f16_e32 v13, v73
	buffer_store_b64 v[42:43], v74, s[4:7], 0 offen
	v_cmp_gt_i32_e64 s1, s13, v85
	v_lshrrev_b32_e32 v43, 16, v69
	v_add_f32_e32 v14, v39, v15
	v_lshl_add_u32 v40, v41, 1, v55
	v_cvt_f32_f16_e32 v39, v72
	v_add_nc_u32_e32 v15, s14, v41
	s_and_b32 s3, s1, vcc_lo
	s_and_b32 s1, s1, s0
	buffer_store_b64 v[11:12], v40, s[4:7], 0 offen
	v_add_f32_e32 v11, v38, v13
	v_max_f32_e32 v13, 0, v14
	v_lshrrev_b32_e32 v14, 16, v72
	v_cvt_f16_f32_e32 v12, v70
	v_cvt_f16_f32_e32 v38, v71
	v_max_f32_e32 v11, 0, v11
	v_cvt_f16_f32_e32 v13, v13
	v_cvt_f32_f16_e32 v14, v14
	v_cndmask_b32_e64 v41, 0x80000000, 0, s3
	s_delay_alu instid0(VALU_DEP_4) | instskip(SKIP_1) | instid1(VALU_DEP_4)
	v_cvt_f16_f32_e32 v40, v11
	v_pack_b32_f16 v11, v12, v38
	v_add_f32_e32 v14, v36, v14
	v_add_f32_e32 v36, v37, v39
	v_lshl_add_u32 v15, v15, 1, v41
	v_pack_b32_f16 v12, v40, v13
	v_cvt_f32_f16_e32 v40, v68
	s_delay_alu instid0(VALU_DEP_4) | instskip(SKIP_2) | instid1(VALU_DEP_4)
	v_dual_max_f32 v13, 0, v14 :: v_dual_max_f32 v14, 0, v36
	v_lshrrev_b32_e32 v36, 16, v68
	v_cvt_f16_f32_e32 v37, v89
	v_add_f32_e32 v35, v35, v40
	v_cvt_f16_f32_e32 v38, v90
	v_cvt_f16_f32_e32 v39, v13
	v_cvt_f32_f16_e32 v36, v36
	v_cvt_f16_f32_e32 v14, v14
	v_max_f32_e32 v35, 0, v35
	v_add_nc_u32_e32 v41, s14, v45
	v_pack_b32_f16 v13, v37, v38
	v_add_f32_e32 v34, v34, v36
	v_cndmask_b32_e64 v36, 0x80000000, 0, s1
	v_cmp_gt_i32_e64 s1, s13, v88
	v_cvt_f16_f32_e32 v35, v35
	v_pack_b32_f16 v14, v14, v39
	v_dual_max_f32 v34, 0, v34 :: v_dual_add_nc_u32 v37, s14, v41
	s_delay_alu instid0(VALU_DEP_4) | instskip(SKIP_2) | instid1(VALU_DEP_3)
	s_and_b32 s3, s1, s0
	v_cvt_f16_f32_e32 v38, v67
	v_cvt_f16_f32_e32 v39, v64
	;; [unrolled: 1-line block ×3, first 2 shown]
	v_cndmask_b32_e64 v42, 0x80000000, 0, s3
	v_lshl_add_u32 v36, v41, 1, v36
	s_and_b32 s1, s1, vcc_lo
	v_pack_b32_f16 v34, v38, v39
	v_pack_b32_f16 v35, v35, v40
	v_cvt_f32_f16_e32 v40, v69
	v_lshl_add_u32 v38, v37, 1, v42
	v_cvt_f32_f16_e32 v39, v43
	s_clause 0x2
	buffer_store_b64 v[11:12], v15, s[4:7], 0 offen
	buffer_store_b64 v[13:14], v36, s[4:7], 0 offen
	buffer_store_b64 v[34:35], v38, s[4:7], 0 offen
	v_add_f32_e32 v12, v31, v40
	v_subrev_nc_u32_e32 v13, s2, v37
	v_cvt_f32_f16_e32 v31, v48
	v_lshrrev_b32_e32 v15, 16, v48
	v_cvt_f16_f32_e32 v14, v65
	s_delay_alu instid0(VALU_DEP_4) | instskip(NEXT) | instid1(VALU_DEP_4)
	v_dual_max_f32 v12, 0, v12 :: v_dual_lshlrev_b32 v35, 1, v13
	v_add_f32_e32 v31, v32, v31
	v_cndmask_b32_e64 v32, 0x80000000, 0, s1
	v_add_f32_e32 v11, v30, v39
	v_cvt_f32_f16_e32 v15, v15
	v_cvt_f16_f32_e32 v30, v66
	v_cvt_f16_f32_e32 v12, v12
	v_cmp_gt_i32_e64 s1, s13, v62
	v_max_f32_e32 v11, 0, v11
	v_add_f32_e32 v15, v33, v15
	v_cvt_f32_f16_e32 v33, v53
	s_delay_alu instid0(VALU_DEP_4) | instskip(NEXT) | instid1(VALU_DEP_3)
	s_and_b32 s3, s1, vcc_lo
	v_cvt_f16_f32_e32 v34, v11
	v_pack_b32_f16 v11, v14, v30
	v_max_f32_e32 v14, 0, v31
	v_dual_max_f32 v15, 0, v15 :: v_dual_add_nc_u32 v30, v35, v32
	s_delay_alu instid0(VALU_DEP_4) | instskip(SKIP_1) | instid1(VALU_DEP_4)
	v_pack_b32_f16 v12, v12, v34
	v_cvt_f16_f32_e32 v31, v46
	v_cvt_f16_f32_e32 v14, v14
	s_delay_alu instid0(VALU_DEP_4)
	v_cvt_f16_f32_e32 v15, v15
	v_cvt_f16_f32_e32 v32, v54
	buffer_store_b64 v[11:12], v30, s[4:7], 0 offen
	v_lshrrev_b32_e32 v30, 16, v57
	s_and_b32 s1, s1, s0
	v_pack_b32_f16 v12, v14, v15
	v_cvt_f32_f16_e32 v14, v57
	v_pack_b32_f16 v11, v31, v32
	v_cvt_f32_f16_e32 v15, v30
	v_cndmask_b32_e64 v30, 0x80000000, 0, s3
	s_lshl_b32 s3, s14, 7
	v_add_f32_e32 v14, v28, v14
	v_cvt_f16_f32_e32 v31, v56
	v_add_f32_e32 v15, v29, v15
	v_lshl_add_u32 v29, s8, 6, v13
	v_cndmask_b32_e64 v34, 0x80000000, 0, s1
	v_max_f32_e32 v13, 0, v14
	v_cmp_ge_i32_e64 s1, s13, v62
	v_max_f32_e32 v14, 0, v15
	v_lshrrev_b32_e32 v15, 16, v53
	v_add3_u32 v28, v30, s3, v35
	v_cvt_f16_f32_e32 v30, v47
	v_cvt_f16_f32_e32 v32, v13
	;; [unrolled: 1-line block ×3, first 2 shown]
	v_cvt_f32_f16_e32 v15, v15
	s_and_b32 s1, s1, s0
	v_pack_b32_f16 v13, v30, v31
	v_cvt_f16_f32_e32 v31, v93
	v_pack_b32_f16 v14, v32, v14
	v_dual_add_f32 v15, v26, v15 :: v_dual_add_f32 v26, v27, v33
	v_cvt_f16_f32_e32 v27, v51
	v_lshrrev_b32_e32 v33, 16, v60
	v_lshl_add_u32 v30, v29, 1, v34
	s_delay_alu instid0(VALU_DEP_4)
	v_dual_max_f32 v15, 0, v15 :: v_dual_max_f32 v26, 0, v26
	v_subrev_nc_u32_e32 v29, s14, v29
	v_cndmask_b32_e64 v34, 0x80000000, 0, s1
	s_clause 0x1
	buffer_store_b64 v[11:12], v28, s[4:7], 0 offen
	buffer_store_b64 v[13:14], v30, s[4:7], 0 offen
	v_cvt_f16_f32_e32 v15, v15
	v_cvt_f16_f32_e32 v32, v26
	v_pack_b32_f16 v26, v27, v31
	v_cvt_f32_f16_e32 v31, v60
	v_cvt_f16_f32_e32 v14, v52
	v_cmp_gt_i32_e64 s1, s13, v10
	v_pack_b32_f16 v27, v32, v15
	v_cvt_f32_f16_e32 v15, v33
	v_lshl_add_u32 v32, v29, 1, v34
	v_add_f32_e32 v12, v25, v31
	s_and_b32 s1, s1, vcc_lo
	v_subrev_nc_u32_e32 v13, s2, v29
	v_add_f32_e32 v11, v24, v15
	v_lshrrev_b32_e32 v24, 16, v61
	buffer_store_b64 v[26:27], v32, s[4:7], 0 offen
	v_max_f32_e32 v12, 0, v12
	v_cvt_f16_f32_e32 v15, v91
	v_max_f32_e32 v11, 0, v11
	v_cvt_f32_f16_e32 v26, v61
	v_cvt_f32_f16_e32 v24, v24
	v_cvt_f16_f32_e32 v12, v12
	v_cndmask_b32_e64 v27, 0x80000000, 0, s1
	v_cvt_f16_f32_e32 v25, v11
	v_pack_b32_f16 v11, v14, v15
	v_dual_add_f32 v14, v22, v24 :: v_dual_add_f32 v15, v23, v26
	v_cmp_ge_i32_e64 s1, s13, v10
	s_delay_alu instid0(VALU_DEP_4) | instskip(SKIP_1) | instid1(VALU_DEP_4)
	v_pack_b32_f16 v12, v12, v25
	v_lshrrev_b32_e32 v25, 16, v9
	v_dual_max_f32 v14, 0, v14 :: v_dual_max_f32 v15, 0, v15
	v_cvt_f16_f32_e32 v23, v58
	v_cvt_f16_f32_e32 v24, v59
	s_delay_alu instid0(VALU_DEP_4) | instskip(NEXT) | instid1(VALU_DEP_4)
	v_cvt_f32_f16_e32 v25, v25
	v_cvt_f16_f32_e32 v10, v14
	v_cvt_f16_f32_e32 v14, v15
	v_cvt_f32_f16_e32 v15, v9
	s_and_b32 s1, s1, vcc_lo
	v_lshl_add_u32 v22, v13, 1, v27
	v_cndmask_b32_e64 v26, 0x80000000, 0, s1
	v_pack_b32_f16 v10, v14, v10
	v_dual_add_f32 v14, v20, v25 :: v_dual_add_f32 v15, v21, v15
	v_cmp_gt_i32_e64 s1, s13, v4
	v_subrev_nc_u32_e32 v13, s14, v13
	v_pack_b32_f16 v9, v23, v24
	s_delay_alu instid0(VALU_DEP_4)
	v_dual_max_f32 v14, 0, v14 :: v_dual_max_f32 v15, 0, v15
	v_lshrrev_b32_e32 v23, 16, v5
	v_cvt_f32_f16_e32 v5, v5
	s_and_b32 s1, s1, s0
	v_lshl_add_u32 v20, v13, 1, v26
	v_cvt_f16_f32_e32 v14, v14
	v_cvt_f16_f32_e32 v15, v15
	v_cvt_f32_f16_e32 v23, v23
	v_add_nc_u32_e32 v21, s2, v13
	v_cvt_f16_f32_e32 v13, v63
	v_cndmask_b32_e64 v24, 0x80000000, 0, s1
	v_add_f32_e32 v5, v18, v5
	v_lshrrev_b32_e32 v18, 16, v1
	v_pack_b32_f16 v14, v15, v14
	v_pack_b32_f16 v13, v13, v8
	v_add_f32_e32 v8, v19, v23
	v_lshl_add_u32 v15, v21, 1, v24
	v_subrev_nc_u32_e32 v19, s14, v21
	v_max_f32_e32 v21, 0, v5
	v_pack_b32_f16 v5, v6, v7
	v_cvt_f32_f16_e32 v7, v18
	v_cvt_f32_f16_e32 v1, v1
	v_cmp_ge_i32_e64 s1, s13, v4
	v_cmp_gt_i32_e64 s2, s13, v0
	s_delay_alu instid0(VALU_DEP_4) | instskip(NEXT) | instid1(VALU_DEP_4)
	v_dual_max_f32 v8, 0, v8 :: v_dual_add_f32 v7, v16, v7
	v_add_f32_e32 v1, v17, v1
	s_delay_alu instid0(VALU_DEP_4)
	s_and_b32 s0, s1, s0
	v_lshlrev_b32_e32 v4, 1, v19
	v_cndmask_b32_e64 v0, 0x80000000, 0, s0
	s_and_b32 s0, s2, vcc_lo
	v_max_f32_e32 v7, 0, v7
	v_max_f32_e32 v1, 0, v1
	v_cndmask_b32_e64 v16, 0x80000000, 0, s0
	s_lshl_b32 s0, s15, 7
	v_cvt_f16_f32_e32 v6, v8
	v_cvt_f16_f32_e32 v8, v21
	;; [unrolled: 1-line block ×4, first 2 shown]
	v_subrev_nc_u32_e32 v16, s0, v16
	s_delay_alu instid0(VALU_DEP_4)
	v_pack_b32_f16 v6, v8, v6
	v_add_nc_u32_e32 v8, v4, v0
	v_pack_b32_f16 v0, v3, v2
	v_pack_b32_f16 v1, v1, v7
	v_add_nc_u32_e32 v2, v16, v4
	s_clause 0x4
	buffer_store_b64 v[11:12], v22, s[4:7], 0 offen
	buffer_store_b64 v[9:10], v20, s[4:7], 0 offen
	;; [unrolled: 1-line block ×5, first 2 shown]
	s_nop 0
	s_sendmsg sendmsg(MSG_DEALLOC_VGPRS)
	s_endpgm
	.section	.rodata,"a",@progbits
	.p2align	6, 0x0
	.amdhsa_kernel _ZN2ck16tensor_operation6device12_GLOBAL__N_137kernel_grouped_conv_fwd_dl_multiple_dINS_32GridwiseGemmDlMultipleD_km_kn_mnILi256EDF16_fNS_5TupleIJDF16_EEEDF16_NS0_12element_wise11PassThroughES8_NS7_7AddReluELNS_25InMemoryDataOperationEnumE0ENS_16TensorDescriptorINS5_IJNS_5EmbedINS5_IJiiiiEEESD_Lb0EEENS_11PassThroughIiEENS_3PadIiiiLb0EEESI_SG_SG_NSC_INS5_IJiiEEESJ_Lb0EEESK_SG_NS_23Merge_v2_magic_divisionINS5_IJiiiEEEEESN_NS_8RightPadIiiLb0EEESP_NS_7UnMergeISJ_Lb0EEESG_EEENS5_IJNS_8SequenceIJLi0EEEENST_IJLi1EEEENST_IJLi2EEEENST_IJLi3EEEENST_IJLi4EEEENST_IJLi5EEEENST_IJLi6EEEENST_IJLi7EEEENST_IJLi8EEEENST_IJLi9ELi11ELi13EEEENST_IJLi10ELi12ELi14EEEENST_IJLi15EEEENST_IJLi16EEEENST_IJLi18EEEENST_IJLi17EEEEEEENS5_IJNST_IJLi1ELi2ELi3ELi4EEEESZ_S10_S11_S12_NST_IJLi9EEEENST_IJLi10ELi11EEEENST_IJLi12ELi13EEEENST_IJLi14EEEES15_S16_S18_S17_NST_IJLi19ELi20EEEENST_IJLi21EEEEEEENST_IJLi19ELi21ELi20EEEElEENSB_INS5_IJSR_SP_SP_SR_SG_EEENS5_IJSU_SV_SW_SY_SX_EEENS5_IJNST_IJLi1ELi2EEEESX_SY_NST_IJLi5ELi6EEEES11_EEENST_IJLi5ELi7ELi6EEEElEENSB_INS5_IJSK_SP_SP_EEENS5_IJSU_SV_SW_EEENS5_IJS1M_SX_SY_EEENST_IJLi3ELi4EEEElEELi128ELi128ELi16ELi2ELi4ELi4ELi1ENST_IJLi8ELi2EEEES1W_NST_IJLi8ELi1ELi1ELi2EEEENST_IJLi2ELi1ELi128ELi1EEEENST_IJLi1ELi2ELi0ELi3EEEES1Z_NST_IJLi4ELi1ELi1ELi2EEEES1Z_NST_IJLi1ELi1ELi1ELi2EEEES1X_S1Y_S1Z_S1Z_S20_S1Z_S21_NST_IJLi0ELi1ELi2ELi3ELi4ELi5EEEELi5ELi4EEEDF16_NS5_IJPKDF16_EEEDF16_S8_S8_S9_NSB_INS5_IJSE_SG_SI_SI_SG_SG_SK_SK_SG_SN_SN_SP_SP_SR_SG_SG_NSQ_INS5_IJiNS_17integral_constantIiLi128EEEEEELb0EEENSF_INS27_IiLi2EEEEEEEENS5_IJSU_SV_SW_SX_SY_SZ_S10_S11_S12_S13_S14_S15_S16_S17_S18_NST_IJLi19EEEES1G_NST_IJLi20EEEEEEENS5_IJS1A_SZ_S10_S11_S12_S1B_S1C_S1D_S1E_S15_S16_S18_S17_S1F_S1G_NST_IJLi22EEEENST_IJLi23ELi24EEEENST_IJLi25EEEEEEENST_IJLi22ELi23ELi24ELi25EEEElEENSB_INS5_IJSR_SP_SP_SR_SG_SG_S2A_S2C_EEENS5_IJSU_SV_SW_SY_SX_SZ_S11_S10_EEENS5_IJS1M_SX_SY_S1N_S11_S12_NST_IJLi9ELi10EEEENST_IJLi11EEEEEEENST_IJLi8ELi9ELi10ELi11EEEElEENS5_IJNSB_INS5_IJSK_SP_SP_NSQ_INS5_IJiS2B_NS27_IiLi64EEEEEELb0EEES2W_EEENS5_IJSU_SV_SW_SX_SY_EEENS5_IJS1M_SX_SY_NST_IJLi5ELi6ELi7EEEENST_IJLi8ELi9ELi10EEEEEEENST_IJLi5ELi6ELi7ELi8ELi9ELi10EEEElEEEEES33_NS_31BlockToCTileMap_M00_N00_M01_N01ILi128ELi128ES1V_Lb0EEENS1_30ComputePtrOffsetOfStridedBatchILi1ELi1ELi1EvEELb1ELb0EEEvPKT0_S3B_T1_PT2_T3_T4_T5_iT6_T7_T8_T9_T10_T11_
		.amdhsa_group_segment_fixed_size 32768
		.amdhsa_private_segment_fixed_size 0
		.amdhsa_kernarg_size 968
		.amdhsa_user_sgpr_count 15
		.amdhsa_user_sgpr_dispatch_ptr 0
		.amdhsa_user_sgpr_queue_ptr 0
		.amdhsa_user_sgpr_kernarg_segment_ptr 1
		.amdhsa_user_sgpr_dispatch_id 0
		.amdhsa_user_sgpr_private_segment_size 0
		.amdhsa_wavefront_size32 1
		.amdhsa_uses_dynamic_stack 0
		.amdhsa_enable_private_segment 0
		.amdhsa_system_sgpr_workgroup_id_x 1
		.amdhsa_system_sgpr_workgroup_id_y 0
		.amdhsa_system_sgpr_workgroup_id_z 0
		.amdhsa_system_sgpr_workgroup_info 0
		.amdhsa_system_vgpr_workitem_id 0
		.amdhsa_next_free_vgpr 130
		.amdhsa_next_free_sgpr 69
		.amdhsa_reserve_vcc 1
		.amdhsa_float_round_mode_32 0
		.amdhsa_float_round_mode_16_64 0
		.amdhsa_float_denorm_mode_32 3
		.amdhsa_float_denorm_mode_16_64 3
		.amdhsa_dx10_clamp 1
		.amdhsa_ieee_mode 1
		.amdhsa_fp16_overflow 0
		.amdhsa_workgroup_processor_mode 1
		.amdhsa_memory_ordered 1
		.amdhsa_forward_progress 0
		.amdhsa_shared_vgpr_count 0
		.amdhsa_exception_fp_ieee_invalid_op 0
		.amdhsa_exception_fp_denorm_src 0
		.amdhsa_exception_fp_ieee_div_zero 0
		.amdhsa_exception_fp_ieee_overflow 0
		.amdhsa_exception_fp_ieee_underflow 0
		.amdhsa_exception_fp_ieee_inexact 0
		.amdhsa_exception_int_div_zero 0
	.end_amdhsa_kernel
	.section	.text._ZN2ck16tensor_operation6device12_GLOBAL__N_137kernel_grouped_conv_fwd_dl_multiple_dINS_32GridwiseGemmDlMultipleD_km_kn_mnILi256EDF16_fNS_5TupleIJDF16_EEEDF16_NS0_12element_wise11PassThroughES8_NS7_7AddReluELNS_25InMemoryDataOperationEnumE0ENS_16TensorDescriptorINS5_IJNS_5EmbedINS5_IJiiiiEEESD_Lb0EEENS_11PassThroughIiEENS_3PadIiiiLb0EEESI_SG_SG_NSC_INS5_IJiiEEESJ_Lb0EEESK_SG_NS_23Merge_v2_magic_divisionINS5_IJiiiEEEEESN_NS_8RightPadIiiLb0EEESP_NS_7UnMergeISJ_Lb0EEESG_EEENS5_IJNS_8SequenceIJLi0EEEENST_IJLi1EEEENST_IJLi2EEEENST_IJLi3EEEENST_IJLi4EEEENST_IJLi5EEEENST_IJLi6EEEENST_IJLi7EEEENST_IJLi8EEEENST_IJLi9ELi11ELi13EEEENST_IJLi10ELi12ELi14EEEENST_IJLi15EEEENST_IJLi16EEEENST_IJLi18EEEENST_IJLi17EEEEEEENS5_IJNST_IJLi1ELi2ELi3ELi4EEEESZ_S10_S11_S12_NST_IJLi9EEEENST_IJLi10ELi11EEEENST_IJLi12ELi13EEEENST_IJLi14EEEES15_S16_S18_S17_NST_IJLi19ELi20EEEENST_IJLi21EEEEEEENST_IJLi19ELi21ELi20EEEElEENSB_INS5_IJSR_SP_SP_SR_SG_EEENS5_IJSU_SV_SW_SY_SX_EEENS5_IJNST_IJLi1ELi2EEEESX_SY_NST_IJLi5ELi6EEEES11_EEENST_IJLi5ELi7ELi6EEEElEENSB_INS5_IJSK_SP_SP_EEENS5_IJSU_SV_SW_EEENS5_IJS1M_SX_SY_EEENST_IJLi3ELi4EEEElEELi128ELi128ELi16ELi2ELi4ELi4ELi1ENST_IJLi8ELi2EEEES1W_NST_IJLi8ELi1ELi1ELi2EEEENST_IJLi2ELi1ELi128ELi1EEEENST_IJLi1ELi2ELi0ELi3EEEES1Z_NST_IJLi4ELi1ELi1ELi2EEEES1Z_NST_IJLi1ELi1ELi1ELi2EEEES1X_S1Y_S1Z_S1Z_S20_S1Z_S21_NST_IJLi0ELi1ELi2ELi3ELi4ELi5EEEELi5ELi4EEEDF16_NS5_IJPKDF16_EEEDF16_S8_S8_S9_NSB_INS5_IJSE_SG_SI_SI_SG_SG_SK_SK_SG_SN_SN_SP_SP_SR_SG_SG_NSQ_INS5_IJiNS_17integral_constantIiLi128EEEEEELb0EEENSF_INS27_IiLi2EEEEEEEENS5_IJSU_SV_SW_SX_SY_SZ_S10_S11_S12_S13_S14_S15_S16_S17_S18_NST_IJLi19EEEES1G_NST_IJLi20EEEEEEENS5_IJS1A_SZ_S10_S11_S12_S1B_S1C_S1D_S1E_S15_S16_S18_S17_S1F_S1G_NST_IJLi22EEEENST_IJLi23ELi24EEEENST_IJLi25EEEEEEENST_IJLi22ELi23ELi24ELi25EEEElEENSB_INS5_IJSR_SP_SP_SR_SG_SG_S2A_S2C_EEENS5_IJSU_SV_SW_SY_SX_SZ_S11_S10_EEENS5_IJS1M_SX_SY_S1N_S11_S12_NST_IJLi9ELi10EEEENST_IJLi11EEEEEEENST_IJLi8ELi9ELi10ELi11EEEElEENS5_IJNSB_INS5_IJSK_SP_SP_NSQ_INS5_IJiS2B_NS27_IiLi64EEEEEELb0EEES2W_EEENS5_IJSU_SV_SW_SX_SY_EEENS5_IJS1M_SX_SY_NST_IJLi5ELi6ELi7EEEENST_IJLi8ELi9ELi10EEEEEEENST_IJLi5ELi6ELi7ELi8ELi9ELi10EEEElEEEEES33_NS_31BlockToCTileMap_M00_N00_M01_N01ILi128ELi128ES1V_Lb0EEENS1_30ComputePtrOffsetOfStridedBatchILi1ELi1ELi1EvEELb1ELb0EEEvPKT0_S3B_T1_PT2_T3_T4_T5_iT6_T7_T8_T9_T10_T11_,"axG",@progbits,_ZN2ck16tensor_operation6device12_GLOBAL__N_137kernel_grouped_conv_fwd_dl_multiple_dINS_32GridwiseGemmDlMultipleD_km_kn_mnILi256EDF16_fNS_5TupleIJDF16_EEEDF16_NS0_12element_wise11PassThroughES8_NS7_7AddReluELNS_25InMemoryDataOperationEnumE0ENS_16TensorDescriptorINS5_IJNS_5EmbedINS5_IJiiiiEEESD_Lb0EEENS_11PassThroughIiEENS_3PadIiiiLb0EEESI_SG_SG_NSC_INS5_IJiiEEESJ_Lb0EEESK_SG_NS_23Merge_v2_magic_divisionINS5_IJiiiEEEEESN_NS_8RightPadIiiLb0EEESP_NS_7UnMergeISJ_Lb0EEESG_EEENS5_IJNS_8SequenceIJLi0EEEENST_IJLi1EEEENST_IJLi2EEEENST_IJLi3EEEENST_IJLi4EEEENST_IJLi5EEEENST_IJLi6EEEENST_IJLi7EEEENST_IJLi8EEEENST_IJLi9ELi11ELi13EEEENST_IJLi10ELi12ELi14EEEENST_IJLi15EEEENST_IJLi16EEEENST_IJLi18EEEENST_IJLi17EEEEEEENS5_IJNST_IJLi1ELi2ELi3ELi4EEEESZ_S10_S11_S12_NST_IJLi9EEEENST_IJLi10ELi11EEEENST_IJLi12ELi13EEEENST_IJLi14EEEES15_S16_S18_S17_NST_IJLi19ELi20EEEENST_IJLi21EEEEEEENST_IJLi19ELi21ELi20EEEElEENSB_INS5_IJSR_SP_SP_SR_SG_EEENS5_IJSU_SV_SW_SY_SX_EEENS5_IJNST_IJLi1ELi2EEEESX_SY_NST_IJLi5ELi6EEEES11_EEENST_IJLi5ELi7ELi6EEEElEENSB_INS5_IJSK_SP_SP_EEENS5_IJSU_SV_SW_EEENS5_IJS1M_SX_SY_EEENST_IJLi3ELi4EEEElEELi128ELi128ELi16ELi2ELi4ELi4ELi1ENST_IJLi8ELi2EEEES1W_NST_IJLi8ELi1ELi1ELi2EEEENST_IJLi2ELi1ELi128ELi1EEEENST_IJLi1ELi2ELi0ELi3EEEES1Z_NST_IJLi4ELi1ELi1ELi2EEEES1Z_NST_IJLi1ELi1ELi1ELi2EEEES1X_S1Y_S1Z_S1Z_S20_S1Z_S21_NST_IJLi0ELi1ELi2ELi3ELi4ELi5EEEELi5ELi4EEEDF16_NS5_IJPKDF16_EEEDF16_S8_S8_S9_NSB_INS5_IJSE_SG_SI_SI_SG_SG_SK_SK_SG_SN_SN_SP_SP_SR_SG_SG_NSQ_INS5_IJiNS_17integral_constantIiLi128EEEEEELb0EEENSF_INS27_IiLi2EEEEEEEENS5_IJSU_SV_SW_SX_SY_SZ_S10_S11_S12_S13_S14_S15_S16_S17_S18_NST_IJLi19EEEES1G_NST_IJLi20EEEEEEENS5_IJS1A_SZ_S10_S11_S12_S1B_S1C_S1D_S1E_S15_S16_S18_S17_S1F_S1G_NST_IJLi22EEEENST_IJLi23ELi24EEEENST_IJLi25EEEEEEENST_IJLi22ELi23ELi24ELi25EEEElEENSB_INS5_IJSR_SP_SP_SR_SG_SG_S2A_S2C_EEENS5_IJSU_SV_SW_SY_SX_SZ_S11_S10_EEENS5_IJS1M_SX_SY_S1N_S11_S12_NST_IJLi9ELi10EEEENST_IJLi11EEEEEEENST_IJLi8ELi9ELi10ELi11EEEElEENS5_IJNSB_INS5_IJSK_SP_SP_NSQ_INS5_IJiS2B_NS27_IiLi64EEEEEELb0EEES2W_EEENS5_IJSU_SV_SW_SX_SY_EEENS5_IJS1M_SX_SY_NST_IJLi5ELi6ELi7EEEENST_IJLi8ELi9ELi10EEEEEEENST_IJLi5ELi6ELi7ELi8ELi9ELi10EEEElEEEEES33_NS_31BlockToCTileMap_M00_N00_M01_N01ILi128ELi128ES1V_Lb0EEENS1_30ComputePtrOffsetOfStridedBatchILi1ELi1ELi1EvEELb1ELb0EEEvPKT0_S3B_T1_PT2_T3_T4_T5_iT6_T7_T8_T9_T10_T11_,comdat
.Lfunc_end6:
	.size	_ZN2ck16tensor_operation6device12_GLOBAL__N_137kernel_grouped_conv_fwd_dl_multiple_dINS_32GridwiseGemmDlMultipleD_km_kn_mnILi256EDF16_fNS_5TupleIJDF16_EEEDF16_NS0_12element_wise11PassThroughES8_NS7_7AddReluELNS_25InMemoryDataOperationEnumE0ENS_16TensorDescriptorINS5_IJNS_5EmbedINS5_IJiiiiEEESD_Lb0EEENS_11PassThroughIiEENS_3PadIiiiLb0EEESI_SG_SG_NSC_INS5_IJiiEEESJ_Lb0EEESK_SG_NS_23Merge_v2_magic_divisionINS5_IJiiiEEEEESN_NS_8RightPadIiiLb0EEESP_NS_7UnMergeISJ_Lb0EEESG_EEENS5_IJNS_8SequenceIJLi0EEEENST_IJLi1EEEENST_IJLi2EEEENST_IJLi3EEEENST_IJLi4EEEENST_IJLi5EEEENST_IJLi6EEEENST_IJLi7EEEENST_IJLi8EEEENST_IJLi9ELi11ELi13EEEENST_IJLi10ELi12ELi14EEEENST_IJLi15EEEENST_IJLi16EEEENST_IJLi18EEEENST_IJLi17EEEEEEENS5_IJNST_IJLi1ELi2ELi3ELi4EEEESZ_S10_S11_S12_NST_IJLi9EEEENST_IJLi10ELi11EEEENST_IJLi12ELi13EEEENST_IJLi14EEEES15_S16_S18_S17_NST_IJLi19ELi20EEEENST_IJLi21EEEEEEENST_IJLi19ELi21ELi20EEEElEENSB_INS5_IJSR_SP_SP_SR_SG_EEENS5_IJSU_SV_SW_SY_SX_EEENS5_IJNST_IJLi1ELi2EEEESX_SY_NST_IJLi5ELi6EEEES11_EEENST_IJLi5ELi7ELi6EEEElEENSB_INS5_IJSK_SP_SP_EEENS5_IJSU_SV_SW_EEENS5_IJS1M_SX_SY_EEENST_IJLi3ELi4EEEElEELi128ELi128ELi16ELi2ELi4ELi4ELi1ENST_IJLi8ELi2EEEES1W_NST_IJLi8ELi1ELi1ELi2EEEENST_IJLi2ELi1ELi128ELi1EEEENST_IJLi1ELi2ELi0ELi3EEEES1Z_NST_IJLi4ELi1ELi1ELi2EEEES1Z_NST_IJLi1ELi1ELi1ELi2EEEES1X_S1Y_S1Z_S1Z_S20_S1Z_S21_NST_IJLi0ELi1ELi2ELi3ELi4ELi5EEEELi5ELi4EEEDF16_NS5_IJPKDF16_EEEDF16_S8_S8_S9_NSB_INS5_IJSE_SG_SI_SI_SG_SG_SK_SK_SG_SN_SN_SP_SP_SR_SG_SG_NSQ_INS5_IJiNS_17integral_constantIiLi128EEEEEELb0EEENSF_INS27_IiLi2EEEEEEEENS5_IJSU_SV_SW_SX_SY_SZ_S10_S11_S12_S13_S14_S15_S16_S17_S18_NST_IJLi19EEEES1G_NST_IJLi20EEEEEEENS5_IJS1A_SZ_S10_S11_S12_S1B_S1C_S1D_S1E_S15_S16_S18_S17_S1F_S1G_NST_IJLi22EEEENST_IJLi23ELi24EEEENST_IJLi25EEEEEEENST_IJLi22ELi23ELi24ELi25EEEElEENSB_INS5_IJSR_SP_SP_SR_SG_SG_S2A_S2C_EEENS5_IJSU_SV_SW_SY_SX_SZ_S11_S10_EEENS5_IJS1M_SX_SY_S1N_S11_S12_NST_IJLi9ELi10EEEENST_IJLi11EEEEEEENST_IJLi8ELi9ELi10ELi11EEEElEENS5_IJNSB_INS5_IJSK_SP_SP_NSQ_INS5_IJiS2B_NS27_IiLi64EEEEEELb0EEES2W_EEENS5_IJSU_SV_SW_SX_SY_EEENS5_IJS1M_SX_SY_NST_IJLi5ELi6ELi7EEEENST_IJLi8ELi9ELi10EEEEEEENST_IJLi5ELi6ELi7ELi8ELi9ELi10EEEElEEEEES33_NS_31BlockToCTileMap_M00_N00_M01_N01ILi128ELi128ES1V_Lb0EEENS1_30ComputePtrOffsetOfStridedBatchILi1ELi1ELi1EvEELb1ELb0EEEvPKT0_S3B_T1_PT2_T3_T4_T5_iT6_T7_T8_T9_T10_T11_, .Lfunc_end6-_ZN2ck16tensor_operation6device12_GLOBAL__N_137kernel_grouped_conv_fwd_dl_multiple_dINS_32GridwiseGemmDlMultipleD_km_kn_mnILi256EDF16_fNS_5TupleIJDF16_EEEDF16_NS0_12element_wise11PassThroughES8_NS7_7AddReluELNS_25InMemoryDataOperationEnumE0ENS_16TensorDescriptorINS5_IJNS_5EmbedINS5_IJiiiiEEESD_Lb0EEENS_11PassThroughIiEENS_3PadIiiiLb0EEESI_SG_SG_NSC_INS5_IJiiEEESJ_Lb0EEESK_SG_NS_23Merge_v2_magic_divisionINS5_IJiiiEEEEESN_NS_8RightPadIiiLb0EEESP_NS_7UnMergeISJ_Lb0EEESG_EEENS5_IJNS_8SequenceIJLi0EEEENST_IJLi1EEEENST_IJLi2EEEENST_IJLi3EEEENST_IJLi4EEEENST_IJLi5EEEENST_IJLi6EEEENST_IJLi7EEEENST_IJLi8EEEENST_IJLi9ELi11ELi13EEEENST_IJLi10ELi12ELi14EEEENST_IJLi15EEEENST_IJLi16EEEENST_IJLi18EEEENST_IJLi17EEEEEEENS5_IJNST_IJLi1ELi2ELi3ELi4EEEESZ_S10_S11_S12_NST_IJLi9EEEENST_IJLi10ELi11EEEENST_IJLi12ELi13EEEENST_IJLi14EEEES15_S16_S18_S17_NST_IJLi19ELi20EEEENST_IJLi21EEEEEEENST_IJLi19ELi21ELi20EEEElEENSB_INS5_IJSR_SP_SP_SR_SG_EEENS5_IJSU_SV_SW_SY_SX_EEENS5_IJNST_IJLi1ELi2EEEESX_SY_NST_IJLi5ELi6EEEES11_EEENST_IJLi5ELi7ELi6EEEElEENSB_INS5_IJSK_SP_SP_EEENS5_IJSU_SV_SW_EEENS5_IJS1M_SX_SY_EEENST_IJLi3ELi4EEEElEELi128ELi128ELi16ELi2ELi4ELi4ELi1ENST_IJLi8ELi2EEEES1W_NST_IJLi8ELi1ELi1ELi2EEEENST_IJLi2ELi1ELi128ELi1EEEENST_IJLi1ELi2ELi0ELi3EEEES1Z_NST_IJLi4ELi1ELi1ELi2EEEES1Z_NST_IJLi1ELi1ELi1ELi2EEEES1X_S1Y_S1Z_S1Z_S20_S1Z_S21_NST_IJLi0ELi1ELi2ELi3ELi4ELi5EEEELi5ELi4EEEDF16_NS5_IJPKDF16_EEEDF16_S8_S8_S9_NSB_INS5_IJSE_SG_SI_SI_SG_SG_SK_SK_SG_SN_SN_SP_SP_SR_SG_SG_NSQ_INS5_IJiNS_17integral_constantIiLi128EEEEEELb0EEENSF_INS27_IiLi2EEEEEEEENS5_IJSU_SV_SW_SX_SY_SZ_S10_S11_S12_S13_S14_S15_S16_S17_S18_NST_IJLi19EEEES1G_NST_IJLi20EEEEEEENS5_IJS1A_SZ_S10_S11_S12_S1B_S1C_S1D_S1E_S15_S16_S18_S17_S1F_S1G_NST_IJLi22EEEENST_IJLi23ELi24EEEENST_IJLi25EEEEEEENST_IJLi22ELi23ELi24ELi25EEEElEENSB_INS5_IJSR_SP_SP_SR_SG_SG_S2A_S2C_EEENS5_IJSU_SV_SW_SY_SX_SZ_S11_S10_EEENS5_IJS1M_SX_SY_S1N_S11_S12_NST_IJLi9ELi10EEEENST_IJLi11EEEEEEENST_IJLi8ELi9ELi10ELi11EEEElEENS5_IJNSB_INS5_IJSK_SP_SP_NSQ_INS5_IJiS2B_NS27_IiLi64EEEEEELb0EEES2W_EEENS5_IJSU_SV_SW_SX_SY_EEENS5_IJS1M_SX_SY_NST_IJLi5ELi6ELi7EEEENST_IJLi8ELi9ELi10EEEEEEENST_IJLi5ELi6ELi7ELi8ELi9ELi10EEEElEEEEES33_NS_31BlockToCTileMap_M00_N00_M01_N01ILi128ELi128ES1V_Lb0EEENS1_30ComputePtrOffsetOfStridedBatchILi1ELi1ELi1EvEELb1ELb0EEEvPKT0_S3B_T1_PT2_T3_T4_T5_iT6_T7_T8_T9_T10_T11_
                                        ; -- End function
	.section	.AMDGPU.csdata,"",@progbits
; Kernel info:
; codeLenInByte = 21344
; NumSgprs: 71
; NumVgprs: 130
; ScratchSize: 0
; MemoryBound: 0
; FloatMode: 240
; IeeeMode: 1
; LDSByteSize: 32768 bytes/workgroup (compile time only)
; SGPRBlocks: 8
; VGPRBlocks: 16
; NumSGPRsForWavesPerEU: 71
; NumVGPRsForWavesPerEU: 130
; Occupancy: 8
; WaveLimiterHint : 0
; COMPUTE_PGM_RSRC2:SCRATCH_EN: 0
; COMPUTE_PGM_RSRC2:USER_SGPR: 15
; COMPUTE_PGM_RSRC2:TRAP_HANDLER: 0
; COMPUTE_PGM_RSRC2:TGID_X_EN: 1
; COMPUTE_PGM_RSRC2:TGID_Y_EN: 0
; COMPUTE_PGM_RSRC2:TGID_Z_EN: 0
; COMPUTE_PGM_RSRC2:TIDIG_COMP_CNT: 0
	.section	.text._ZN2ck16tensor_operation6device12_GLOBAL__N_137kernel_grouped_conv_fwd_dl_multiple_dINS_32GridwiseGemmDlMultipleD_km_kn_mnILi256EDF16_fNS_5TupleIJDF16_EEEDF16_NS0_12element_wise11PassThroughES8_NS7_7AddReluELNS_25InMemoryDataOperationEnumE0ENS_16TensorDescriptorINS5_IJNS_5EmbedINS5_IJiiiiEEESD_Lb0EEENS_11PassThroughIiEENS_3PadIiiiLb0EEESI_SG_SG_NSC_INS5_IJiiEEESJ_Lb0EEESK_SG_NS_23Merge_v2_magic_divisionINS5_IJiiiEEEEESN_NS_8RightPadIiiLb0EEESP_NS_7UnMergeISJ_Lb0EEESG_EEENS5_IJNS_8SequenceIJLi0EEEENST_IJLi1EEEENST_IJLi2EEEENST_IJLi3EEEENST_IJLi4EEEENST_IJLi5EEEENST_IJLi6EEEENST_IJLi7EEEENST_IJLi8EEEENST_IJLi9ELi11ELi13EEEENST_IJLi10ELi12ELi14EEEENST_IJLi15EEEENST_IJLi16EEEENST_IJLi18EEEENST_IJLi17EEEEEEENS5_IJNST_IJLi1ELi2ELi3ELi4EEEESZ_S10_S11_S12_NST_IJLi9EEEENST_IJLi10ELi11EEEENST_IJLi12ELi13EEEENST_IJLi14EEEES15_S16_S18_S17_NST_IJLi19ELi20EEEENST_IJLi21EEEEEEENST_IJLi19ELi21ELi20EEEElEENSB_INS5_IJSR_SP_SP_SR_SG_EEENS5_IJSU_SV_SW_SY_SX_EEENS5_IJNST_IJLi1ELi2EEEESX_SY_NST_IJLi5ELi6EEEES11_EEENST_IJLi5ELi7ELi6EEEElEENSB_INS5_IJSK_SP_SP_EEENS5_IJSU_SV_SW_EEENS5_IJS1M_SX_SY_EEENST_IJLi3ELi4EEEElEELi128ELi128ELi16ELi2ELi4ELi4ELi1ENST_IJLi8ELi2EEEES1W_NST_IJLi8ELi1ELi1ELi2EEEENST_IJLi2ELi1ELi128ELi1EEEENST_IJLi1ELi2ELi0ELi3EEEES1Z_NST_IJLi4ELi1ELi1ELi2EEEES1Z_NST_IJLi1ELi1ELi1ELi2EEEES1X_S1Y_S1Z_S1Z_S20_S1Z_S21_NST_IJLi0ELi1ELi2ELi3ELi4ELi5EEEELi5ELi4EEEDF16_NS5_IJPKDF16_EEEDF16_S8_S8_S9_NSB_INS5_IJSE_SG_SI_SI_SG_SG_SK_SK_SG_SN_SN_SP_SP_SR_SG_SG_NSQ_INS5_IJiNS_17integral_constantIiLi128EEEEEELb0EEENSF_INS27_IiLi2EEEEEEEENS5_IJSU_SV_SW_SX_SY_SZ_S10_S11_S12_S13_S14_S15_S16_S17_S18_NST_IJLi19EEEES1G_NST_IJLi20EEEEEEENS5_IJS1A_SZ_S10_S11_S12_S1B_S1C_S1D_S1E_S15_S16_S18_S17_S1F_S1G_NST_IJLi22EEEENST_IJLi23ELi24EEEENST_IJLi25EEEEEEENST_IJLi22ELi23ELi24ELi25EEEElEENSB_INS5_IJSR_SP_SP_SR_SG_SG_S2A_S2C_EEENS5_IJSU_SV_SW_SY_SX_SZ_S11_S10_EEENS5_IJS1M_SX_SY_S1N_S11_S12_NST_IJLi9ELi10EEEENST_IJLi11EEEEEEENST_IJLi8ELi9ELi10ELi11EEEElEENS5_IJNSB_INS5_IJSK_SP_SP_NSQ_INS5_IJiS2B_NS27_IiLi64EEEEEELb0EEES2W_EEENS5_IJSU_SV_SW_SX_SY_EEENS5_IJS1M_SX_SY_NST_IJLi5ELi6ELi7EEEENST_IJLi8ELi9ELi10EEEEEEENST_IJLi5ELi6ELi7ELi8ELi9ELi10EEEElEEEEES33_NS_31BlockToCTileMap_M00_N00_M01_N01ILi128ELi128ES1V_Lb0EEENS1_30ComputePtrOffsetOfStridedBatchILi1ELi1ELi1EvEELb0ELb1EEEvPKT0_S3B_T1_PT2_T3_T4_T5_iT6_T7_T8_T9_T10_T11_,"axG",@progbits,_ZN2ck16tensor_operation6device12_GLOBAL__N_137kernel_grouped_conv_fwd_dl_multiple_dINS_32GridwiseGemmDlMultipleD_km_kn_mnILi256EDF16_fNS_5TupleIJDF16_EEEDF16_NS0_12element_wise11PassThroughES8_NS7_7AddReluELNS_25InMemoryDataOperationEnumE0ENS_16TensorDescriptorINS5_IJNS_5EmbedINS5_IJiiiiEEESD_Lb0EEENS_11PassThroughIiEENS_3PadIiiiLb0EEESI_SG_SG_NSC_INS5_IJiiEEESJ_Lb0EEESK_SG_NS_23Merge_v2_magic_divisionINS5_IJiiiEEEEESN_NS_8RightPadIiiLb0EEESP_NS_7UnMergeISJ_Lb0EEESG_EEENS5_IJNS_8SequenceIJLi0EEEENST_IJLi1EEEENST_IJLi2EEEENST_IJLi3EEEENST_IJLi4EEEENST_IJLi5EEEENST_IJLi6EEEENST_IJLi7EEEENST_IJLi8EEEENST_IJLi9ELi11ELi13EEEENST_IJLi10ELi12ELi14EEEENST_IJLi15EEEENST_IJLi16EEEENST_IJLi18EEEENST_IJLi17EEEEEEENS5_IJNST_IJLi1ELi2ELi3ELi4EEEESZ_S10_S11_S12_NST_IJLi9EEEENST_IJLi10ELi11EEEENST_IJLi12ELi13EEEENST_IJLi14EEEES15_S16_S18_S17_NST_IJLi19ELi20EEEENST_IJLi21EEEEEEENST_IJLi19ELi21ELi20EEEElEENSB_INS5_IJSR_SP_SP_SR_SG_EEENS5_IJSU_SV_SW_SY_SX_EEENS5_IJNST_IJLi1ELi2EEEESX_SY_NST_IJLi5ELi6EEEES11_EEENST_IJLi5ELi7ELi6EEEElEENSB_INS5_IJSK_SP_SP_EEENS5_IJSU_SV_SW_EEENS5_IJS1M_SX_SY_EEENST_IJLi3ELi4EEEElEELi128ELi128ELi16ELi2ELi4ELi4ELi1ENST_IJLi8ELi2EEEES1W_NST_IJLi8ELi1ELi1ELi2EEEENST_IJLi2ELi1ELi128ELi1EEEENST_IJLi1ELi2ELi0ELi3EEEES1Z_NST_IJLi4ELi1ELi1ELi2EEEES1Z_NST_IJLi1ELi1ELi1ELi2EEEES1X_S1Y_S1Z_S1Z_S20_S1Z_S21_NST_IJLi0ELi1ELi2ELi3ELi4ELi5EEEELi5ELi4EEEDF16_NS5_IJPKDF16_EEEDF16_S8_S8_S9_NSB_INS5_IJSE_SG_SI_SI_SG_SG_SK_SK_SG_SN_SN_SP_SP_SR_SG_SG_NSQ_INS5_IJiNS_17integral_constantIiLi128EEEEEELb0EEENSF_INS27_IiLi2EEEEEEEENS5_IJSU_SV_SW_SX_SY_SZ_S10_S11_S12_S13_S14_S15_S16_S17_S18_NST_IJLi19EEEES1G_NST_IJLi20EEEEEEENS5_IJS1A_SZ_S10_S11_S12_S1B_S1C_S1D_S1E_S15_S16_S18_S17_S1F_S1G_NST_IJLi22EEEENST_IJLi23ELi24EEEENST_IJLi25EEEEEEENST_IJLi22ELi23ELi24ELi25EEEElEENSB_INS5_IJSR_SP_SP_SR_SG_SG_S2A_S2C_EEENS5_IJSU_SV_SW_SY_SX_SZ_S11_S10_EEENS5_IJS1M_SX_SY_S1N_S11_S12_NST_IJLi9ELi10EEEENST_IJLi11EEEEEEENST_IJLi8ELi9ELi10ELi11EEEElEENS5_IJNSB_INS5_IJSK_SP_SP_NSQ_INS5_IJiS2B_NS27_IiLi64EEEEEELb0EEES2W_EEENS5_IJSU_SV_SW_SX_SY_EEENS5_IJS1M_SX_SY_NST_IJLi5ELi6ELi7EEEENST_IJLi8ELi9ELi10EEEEEEENST_IJLi5ELi6ELi7ELi8ELi9ELi10EEEElEEEEES33_NS_31BlockToCTileMap_M00_N00_M01_N01ILi128ELi128ES1V_Lb0EEENS1_30ComputePtrOffsetOfStridedBatchILi1ELi1ELi1EvEELb0ELb1EEEvPKT0_S3B_T1_PT2_T3_T4_T5_iT6_T7_T8_T9_T10_T11_,comdat
	.globl	_ZN2ck16tensor_operation6device12_GLOBAL__N_137kernel_grouped_conv_fwd_dl_multiple_dINS_32GridwiseGemmDlMultipleD_km_kn_mnILi256EDF16_fNS_5TupleIJDF16_EEEDF16_NS0_12element_wise11PassThroughES8_NS7_7AddReluELNS_25InMemoryDataOperationEnumE0ENS_16TensorDescriptorINS5_IJNS_5EmbedINS5_IJiiiiEEESD_Lb0EEENS_11PassThroughIiEENS_3PadIiiiLb0EEESI_SG_SG_NSC_INS5_IJiiEEESJ_Lb0EEESK_SG_NS_23Merge_v2_magic_divisionINS5_IJiiiEEEEESN_NS_8RightPadIiiLb0EEESP_NS_7UnMergeISJ_Lb0EEESG_EEENS5_IJNS_8SequenceIJLi0EEEENST_IJLi1EEEENST_IJLi2EEEENST_IJLi3EEEENST_IJLi4EEEENST_IJLi5EEEENST_IJLi6EEEENST_IJLi7EEEENST_IJLi8EEEENST_IJLi9ELi11ELi13EEEENST_IJLi10ELi12ELi14EEEENST_IJLi15EEEENST_IJLi16EEEENST_IJLi18EEEENST_IJLi17EEEEEEENS5_IJNST_IJLi1ELi2ELi3ELi4EEEESZ_S10_S11_S12_NST_IJLi9EEEENST_IJLi10ELi11EEEENST_IJLi12ELi13EEEENST_IJLi14EEEES15_S16_S18_S17_NST_IJLi19ELi20EEEENST_IJLi21EEEEEEENST_IJLi19ELi21ELi20EEEElEENSB_INS5_IJSR_SP_SP_SR_SG_EEENS5_IJSU_SV_SW_SY_SX_EEENS5_IJNST_IJLi1ELi2EEEESX_SY_NST_IJLi5ELi6EEEES11_EEENST_IJLi5ELi7ELi6EEEElEENSB_INS5_IJSK_SP_SP_EEENS5_IJSU_SV_SW_EEENS5_IJS1M_SX_SY_EEENST_IJLi3ELi4EEEElEELi128ELi128ELi16ELi2ELi4ELi4ELi1ENST_IJLi8ELi2EEEES1W_NST_IJLi8ELi1ELi1ELi2EEEENST_IJLi2ELi1ELi128ELi1EEEENST_IJLi1ELi2ELi0ELi3EEEES1Z_NST_IJLi4ELi1ELi1ELi2EEEES1Z_NST_IJLi1ELi1ELi1ELi2EEEES1X_S1Y_S1Z_S1Z_S20_S1Z_S21_NST_IJLi0ELi1ELi2ELi3ELi4ELi5EEEELi5ELi4EEEDF16_NS5_IJPKDF16_EEEDF16_S8_S8_S9_NSB_INS5_IJSE_SG_SI_SI_SG_SG_SK_SK_SG_SN_SN_SP_SP_SR_SG_SG_NSQ_INS5_IJiNS_17integral_constantIiLi128EEEEEELb0EEENSF_INS27_IiLi2EEEEEEEENS5_IJSU_SV_SW_SX_SY_SZ_S10_S11_S12_S13_S14_S15_S16_S17_S18_NST_IJLi19EEEES1G_NST_IJLi20EEEEEEENS5_IJS1A_SZ_S10_S11_S12_S1B_S1C_S1D_S1E_S15_S16_S18_S17_S1F_S1G_NST_IJLi22EEEENST_IJLi23ELi24EEEENST_IJLi25EEEEEEENST_IJLi22ELi23ELi24ELi25EEEElEENSB_INS5_IJSR_SP_SP_SR_SG_SG_S2A_S2C_EEENS5_IJSU_SV_SW_SY_SX_SZ_S11_S10_EEENS5_IJS1M_SX_SY_S1N_S11_S12_NST_IJLi9ELi10EEEENST_IJLi11EEEEEEENST_IJLi8ELi9ELi10ELi11EEEElEENS5_IJNSB_INS5_IJSK_SP_SP_NSQ_INS5_IJiS2B_NS27_IiLi64EEEEEELb0EEES2W_EEENS5_IJSU_SV_SW_SX_SY_EEENS5_IJS1M_SX_SY_NST_IJLi5ELi6ELi7EEEENST_IJLi8ELi9ELi10EEEEEEENST_IJLi5ELi6ELi7ELi8ELi9ELi10EEEElEEEEES33_NS_31BlockToCTileMap_M00_N00_M01_N01ILi128ELi128ES1V_Lb0EEENS1_30ComputePtrOffsetOfStridedBatchILi1ELi1ELi1EvEELb0ELb1EEEvPKT0_S3B_T1_PT2_T3_T4_T5_iT6_T7_T8_T9_T10_T11_ ; -- Begin function _ZN2ck16tensor_operation6device12_GLOBAL__N_137kernel_grouped_conv_fwd_dl_multiple_dINS_32GridwiseGemmDlMultipleD_km_kn_mnILi256EDF16_fNS_5TupleIJDF16_EEEDF16_NS0_12element_wise11PassThroughES8_NS7_7AddReluELNS_25InMemoryDataOperationEnumE0ENS_16TensorDescriptorINS5_IJNS_5EmbedINS5_IJiiiiEEESD_Lb0EEENS_11PassThroughIiEENS_3PadIiiiLb0EEESI_SG_SG_NSC_INS5_IJiiEEESJ_Lb0EEESK_SG_NS_23Merge_v2_magic_divisionINS5_IJiiiEEEEESN_NS_8RightPadIiiLb0EEESP_NS_7UnMergeISJ_Lb0EEESG_EEENS5_IJNS_8SequenceIJLi0EEEENST_IJLi1EEEENST_IJLi2EEEENST_IJLi3EEEENST_IJLi4EEEENST_IJLi5EEEENST_IJLi6EEEENST_IJLi7EEEENST_IJLi8EEEENST_IJLi9ELi11ELi13EEEENST_IJLi10ELi12ELi14EEEENST_IJLi15EEEENST_IJLi16EEEENST_IJLi18EEEENST_IJLi17EEEEEEENS5_IJNST_IJLi1ELi2ELi3ELi4EEEESZ_S10_S11_S12_NST_IJLi9EEEENST_IJLi10ELi11EEEENST_IJLi12ELi13EEEENST_IJLi14EEEES15_S16_S18_S17_NST_IJLi19ELi20EEEENST_IJLi21EEEEEEENST_IJLi19ELi21ELi20EEEElEENSB_INS5_IJSR_SP_SP_SR_SG_EEENS5_IJSU_SV_SW_SY_SX_EEENS5_IJNST_IJLi1ELi2EEEESX_SY_NST_IJLi5ELi6EEEES11_EEENST_IJLi5ELi7ELi6EEEElEENSB_INS5_IJSK_SP_SP_EEENS5_IJSU_SV_SW_EEENS5_IJS1M_SX_SY_EEENST_IJLi3ELi4EEEElEELi128ELi128ELi16ELi2ELi4ELi4ELi1ENST_IJLi8ELi2EEEES1W_NST_IJLi8ELi1ELi1ELi2EEEENST_IJLi2ELi1ELi128ELi1EEEENST_IJLi1ELi2ELi0ELi3EEEES1Z_NST_IJLi4ELi1ELi1ELi2EEEES1Z_NST_IJLi1ELi1ELi1ELi2EEEES1X_S1Y_S1Z_S1Z_S20_S1Z_S21_NST_IJLi0ELi1ELi2ELi3ELi4ELi5EEEELi5ELi4EEEDF16_NS5_IJPKDF16_EEEDF16_S8_S8_S9_NSB_INS5_IJSE_SG_SI_SI_SG_SG_SK_SK_SG_SN_SN_SP_SP_SR_SG_SG_NSQ_INS5_IJiNS_17integral_constantIiLi128EEEEEELb0EEENSF_INS27_IiLi2EEEEEEEENS5_IJSU_SV_SW_SX_SY_SZ_S10_S11_S12_S13_S14_S15_S16_S17_S18_NST_IJLi19EEEES1G_NST_IJLi20EEEEEEENS5_IJS1A_SZ_S10_S11_S12_S1B_S1C_S1D_S1E_S15_S16_S18_S17_S1F_S1G_NST_IJLi22EEEENST_IJLi23ELi24EEEENST_IJLi25EEEEEEENST_IJLi22ELi23ELi24ELi25EEEElEENSB_INS5_IJSR_SP_SP_SR_SG_SG_S2A_S2C_EEENS5_IJSU_SV_SW_SY_SX_SZ_S11_S10_EEENS5_IJS1M_SX_SY_S1N_S11_S12_NST_IJLi9ELi10EEEENST_IJLi11EEEEEEENST_IJLi8ELi9ELi10ELi11EEEElEENS5_IJNSB_INS5_IJSK_SP_SP_NSQ_INS5_IJiS2B_NS27_IiLi64EEEEEELb0EEES2W_EEENS5_IJSU_SV_SW_SX_SY_EEENS5_IJS1M_SX_SY_NST_IJLi5ELi6ELi7EEEENST_IJLi8ELi9ELi10EEEEEEENST_IJLi5ELi6ELi7ELi8ELi9ELi10EEEElEEEEES33_NS_31BlockToCTileMap_M00_N00_M01_N01ILi128ELi128ES1V_Lb0EEENS1_30ComputePtrOffsetOfStridedBatchILi1ELi1ELi1EvEELb0ELb1EEEvPKT0_S3B_T1_PT2_T3_T4_T5_iT6_T7_T8_T9_T10_T11_
	.p2align	8
	.type	_ZN2ck16tensor_operation6device12_GLOBAL__N_137kernel_grouped_conv_fwd_dl_multiple_dINS_32GridwiseGemmDlMultipleD_km_kn_mnILi256EDF16_fNS_5TupleIJDF16_EEEDF16_NS0_12element_wise11PassThroughES8_NS7_7AddReluELNS_25InMemoryDataOperationEnumE0ENS_16TensorDescriptorINS5_IJNS_5EmbedINS5_IJiiiiEEESD_Lb0EEENS_11PassThroughIiEENS_3PadIiiiLb0EEESI_SG_SG_NSC_INS5_IJiiEEESJ_Lb0EEESK_SG_NS_23Merge_v2_magic_divisionINS5_IJiiiEEEEESN_NS_8RightPadIiiLb0EEESP_NS_7UnMergeISJ_Lb0EEESG_EEENS5_IJNS_8SequenceIJLi0EEEENST_IJLi1EEEENST_IJLi2EEEENST_IJLi3EEEENST_IJLi4EEEENST_IJLi5EEEENST_IJLi6EEEENST_IJLi7EEEENST_IJLi8EEEENST_IJLi9ELi11ELi13EEEENST_IJLi10ELi12ELi14EEEENST_IJLi15EEEENST_IJLi16EEEENST_IJLi18EEEENST_IJLi17EEEEEEENS5_IJNST_IJLi1ELi2ELi3ELi4EEEESZ_S10_S11_S12_NST_IJLi9EEEENST_IJLi10ELi11EEEENST_IJLi12ELi13EEEENST_IJLi14EEEES15_S16_S18_S17_NST_IJLi19ELi20EEEENST_IJLi21EEEEEEENST_IJLi19ELi21ELi20EEEElEENSB_INS5_IJSR_SP_SP_SR_SG_EEENS5_IJSU_SV_SW_SY_SX_EEENS5_IJNST_IJLi1ELi2EEEESX_SY_NST_IJLi5ELi6EEEES11_EEENST_IJLi5ELi7ELi6EEEElEENSB_INS5_IJSK_SP_SP_EEENS5_IJSU_SV_SW_EEENS5_IJS1M_SX_SY_EEENST_IJLi3ELi4EEEElEELi128ELi128ELi16ELi2ELi4ELi4ELi1ENST_IJLi8ELi2EEEES1W_NST_IJLi8ELi1ELi1ELi2EEEENST_IJLi2ELi1ELi128ELi1EEEENST_IJLi1ELi2ELi0ELi3EEEES1Z_NST_IJLi4ELi1ELi1ELi2EEEES1Z_NST_IJLi1ELi1ELi1ELi2EEEES1X_S1Y_S1Z_S1Z_S20_S1Z_S21_NST_IJLi0ELi1ELi2ELi3ELi4ELi5EEEELi5ELi4EEEDF16_NS5_IJPKDF16_EEEDF16_S8_S8_S9_NSB_INS5_IJSE_SG_SI_SI_SG_SG_SK_SK_SG_SN_SN_SP_SP_SR_SG_SG_NSQ_INS5_IJiNS_17integral_constantIiLi128EEEEEELb0EEENSF_INS27_IiLi2EEEEEEEENS5_IJSU_SV_SW_SX_SY_SZ_S10_S11_S12_S13_S14_S15_S16_S17_S18_NST_IJLi19EEEES1G_NST_IJLi20EEEEEEENS5_IJS1A_SZ_S10_S11_S12_S1B_S1C_S1D_S1E_S15_S16_S18_S17_S1F_S1G_NST_IJLi22EEEENST_IJLi23ELi24EEEENST_IJLi25EEEEEEENST_IJLi22ELi23ELi24ELi25EEEElEENSB_INS5_IJSR_SP_SP_SR_SG_SG_S2A_S2C_EEENS5_IJSU_SV_SW_SY_SX_SZ_S11_S10_EEENS5_IJS1M_SX_SY_S1N_S11_S12_NST_IJLi9ELi10EEEENST_IJLi11EEEEEEENST_IJLi8ELi9ELi10ELi11EEEElEENS5_IJNSB_INS5_IJSK_SP_SP_NSQ_INS5_IJiS2B_NS27_IiLi64EEEEEELb0EEES2W_EEENS5_IJSU_SV_SW_SX_SY_EEENS5_IJS1M_SX_SY_NST_IJLi5ELi6ELi7EEEENST_IJLi8ELi9ELi10EEEEEEENST_IJLi5ELi6ELi7ELi8ELi9ELi10EEEElEEEEES33_NS_31BlockToCTileMap_M00_N00_M01_N01ILi128ELi128ES1V_Lb0EEENS1_30ComputePtrOffsetOfStridedBatchILi1ELi1ELi1EvEELb0ELb1EEEvPKT0_S3B_T1_PT2_T3_T4_T5_iT6_T7_T8_T9_T10_T11_,@function
_ZN2ck16tensor_operation6device12_GLOBAL__N_137kernel_grouped_conv_fwd_dl_multiple_dINS_32GridwiseGemmDlMultipleD_km_kn_mnILi256EDF16_fNS_5TupleIJDF16_EEEDF16_NS0_12element_wise11PassThroughES8_NS7_7AddReluELNS_25InMemoryDataOperationEnumE0ENS_16TensorDescriptorINS5_IJNS_5EmbedINS5_IJiiiiEEESD_Lb0EEENS_11PassThroughIiEENS_3PadIiiiLb0EEESI_SG_SG_NSC_INS5_IJiiEEESJ_Lb0EEESK_SG_NS_23Merge_v2_magic_divisionINS5_IJiiiEEEEESN_NS_8RightPadIiiLb0EEESP_NS_7UnMergeISJ_Lb0EEESG_EEENS5_IJNS_8SequenceIJLi0EEEENST_IJLi1EEEENST_IJLi2EEEENST_IJLi3EEEENST_IJLi4EEEENST_IJLi5EEEENST_IJLi6EEEENST_IJLi7EEEENST_IJLi8EEEENST_IJLi9ELi11ELi13EEEENST_IJLi10ELi12ELi14EEEENST_IJLi15EEEENST_IJLi16EEEENST_IJLi18EEEENST_IJLi17EEEEEEENS5_IJNST_IJLi1ELi2ELi3ELi4EEEESZ_S10_S11_S12_NST_IJLi9EEEENST_IJLi10ELi11EEEENST_IJLi12ELi13EEEENST_IJLi14EEEES15_S16_S18_S17_NST_IJLi19ELi20EEEENST_IJLi21EEEEEEENST_IJLi19ELi21ELi20EEEElEENSB_INS5_IJSR_SP_SP_SR_SG_EEENS5_IJSU_SV_SW_SY_SX_EEENS5_IJNST_IJLi1ELi2EEEESX_SY_NST_IJLi5ELi6EEEES11_EEENST_IJLi5ELi7ELi6EEEElEENSB_INS5_IJSK_SP_SP_EEENS5_IJSU_SV_SW_EEENS5_IJS1M_SX_SY_EEENST_IJLi3ELi4EEEElEELi128ELi128ELi16ELi2ELi4ELi4ELi1ENST_IJLi8ELi2EEEES1W_NST_IJLi8ELi1ELi1ELi2EEEENST_IJLi2ELi1ELi128ELi1EEEENST_IJLi1ELi2ELi0ELi3EEEES1Z_NST_IJLi4ELi1ELi1ELi2EEEES1Z_NST_IJLi1ELi1ELi1ELi2EEEES1X_S1Y_S1Z_S1Z_S20_S1Z_S21_NST_IJLi0ELi1ELi2ELi3ELi4ELi5EEEELi5ELi4EEEDF16_NS5_IJPKDF16_EEEDF16_S8_S8_S9_NSB_INS5_IJSE_SG_SI_SI_SG_SG_SK_SK_SG_SN_SN_SP_SP_SR_SG_SG_NSQ_INS5_IJiNS_17integral_constantIiLi128EEEEEELb0EEENSF_INS27_IiLi2EEEEEEEENS5_IJSU_SV_SW_SX_SY_SZ_S10_S11_S12_S13_S14_S15_S16_S17_S18_NST_IJLi19EEEES1G_NST_IJLi20EEEEEEENS5_IJS1A_SZ_S10_S11_S12_S1B_S1C_S1D_S1E_S15_S16_S18_S17_S1F_S1G_NST_IJLi22EEEENST_IJLi23ELi24EEEENST_IJLi25EEEEEEENST_IJLi22ELi23ELi24ELi25EEEElEENSB_INS5_IJSR_SP_SP_SR_SG_SG_S2A_S2C_EEENS5_IJSU_SV_SW_SY_SX_SZ_S11_S10_EEENS5_IJS1M_SX_SY_S1N_S11_S12_NST_IJLi9ELi10EEEENST_IJLi11EEEEEEENST_IJLi8ELi9ELi10ELi11EEEElEENS5_IJNSB_INS5_IJSK_SP_SP_NSQ_INS5_IJiS2B_NS27_IiLi64EEEEEELb0EEES2W_EEENS5_IJSU_SV_SW_SX_SY_EEENS5_IJS1M_SX_SY_NST_IJLi5ELi6ELi7EEEENST_IJLi8ELi9ELi10EEEEEEENST_IJLi5ELi6ELi7ELi8ELi9ELi10EEEElEEEEES33_NS_31BlockToCTileMap_M00_N00_M01_N01ILi128ELi128ES1V_Lb0EEENS1_30ComputePtrOffsetOfStridedBatchILi1ELi1ELi1EvEELb0ELb1EEEvPKT0_S3B_T1_PT2_T3_T4_T5_iT6_T7_T8_T9_T10_T11_: ; @_ZN2ck16tensor_operation6device12_GLOBAL__N_137kernel_grouped_conv_fwd_dl_multiple_dINS_32GridwiseGemmDlMultipleD_km_kn_mnILi256EDF16_fNS_5TupleIJDF16_EEEDF16_NS0_12element_wise11PassThroughES8_NS7_7AddReluELNS_25InMemoryDataOperationEnumE0ENS_16TensorDescriptorINS5_IJNS_5EmbedINS5_IJiiiiEEESD_Lb0EEENS_11PassThroughIiEENS_3PadIiiiLb0EEESI_SG_SG_NSC_INS5_IJiiEEESJ_Lb0EEESK_SG_NS_23Merge_v2_magic_divisionINS5_IJiiiEEEEESN_NS_8RightPadIiiLb0EEESP_NS_7UnMergeISJ_Lb0EEESG_EEENS5_IJNS_8SequenceIJLi0EEEENST_IJLi1EEEENST_IJLi2EEEENST_IJLi3EEEENST_IJLi4EEEENST_IJLi5EEEENST_IJLi6EEEENST_IJLi7EEEENST_IJLi8EEEENST_IJLi9ELi11ELi13EEEENST_IJLi10ELi12ELi14EEEENST_IJLi15EEEENST_IJLi16EEEENST_IJLi18EEEENST_IJLi17EEEEEEENS5_IJNST_IJLi1ELi2ELi3ELi4EEEESZ_S10_S11_S12_NST_IJLi9EEEENST_IJLi10ELi11EEEENST_IJLi12ELi13EEEENST_IJLi14EEEES15_S16_S18_S17_NST_IJLi19ELi20EEEENST_IJLi21EEEEEEENST_IJLi19ELi21ELi20EEEElEENSB_INS5_IJSR_SP_SP_SR_SG_EEENS5_IJSU_SV_SW_SY_SX_EEENS5_IJNST_IJLi1ELi2EEEESX_SY_NST_IJLi5ELi6EEEES11_EEENST_IJLi5ELi7ELi6EEEElEENSB_INS5_IJSK_SP_SP_EEENS5_IJSU_SV_SW_EEENS5_IJS1M_SX_SY_EEENST_IJLi3ELi4EEEElEELi128ELi128ELi16ELi2ELi4ELi4ELi1ENST_IJLi8ELi2EEEES1W_NST_IJLi8ELi1ELi1ELi2EEEENST_IJLi2ELi1ELi128ELi1EEEENST_IJLi1ELi2ELi0ELi3EEEES1Z_NST_IJLi4ELi1ELi1ELi2EEEES1Z_NST_IJLi1ELi1ELi1ELi2EEEES1X_S1Y_S1Z_S1Z_S20_S1Z_S21_NST_IJLi0ELi1ELi2ELi3ELi4ELi5EEEELi5ELi4EEEDF16_NS5_IJPKDF16_EEEDF16_S8_S8_S9_NSB_INS5_IJSE_SG_SI_SI_SG_SG_SK_SK_SG_SN_SN_SP_SP_SR_SG_SG_NSQ_INS5_IJiNS_17integral_constantIiLi128EEEEEELb0EEENSF_INS27_IiLi2EEEEEEEENS5_IJSU_SV_SW_SX_SY_SZ_S10_S11_S12_S13_S14_S15_S16_S17_S18_NST_IJLi19EEEES1G_NST_IJLi20EEEEEEENS5_IJS1A_SZ_S10_S11_S12_S1B_S1C_S1D_S1E_S15_S16_S18_S17_S1F_S1G_NST_IJLi22EEEENST_IJLi23ELi24EEEENST_IJLi25EEEEEEENST_IJLi22ELi23ELi24ELi25EEEElEENSB_INS5_IJSR_SP_SP_SR_SG_SG_S2A_S2C_EEENS5_IJSU_SV_SW_SY_SX_SZ_S11_S10_EEENS5_IJS1M_SX_SY_S1N_S11_S12_NST_IJLi9ELi10EEEENST_IJLi11EEEEEEENST_IJLi8ELi9ELi10ELi11EEEElEENS5_IJNSB_INS5_IJSK_SP_SP_NSQ_INS5_IJiS2B_NS27_IiLi64EEEEEELb0EEES2W_EEENS5_IJSU_SV_SW_SX_SY_EEENS5_IJS1M_SX_SY_NST_IJLi5ELi6ELi7EEEENST_IJLi8ELi9ELi10EEEEEEENST_IJLi5ELi6ELi7ELi8ELi9ELi10EEEElEEEEES33_NS_31BlockToCTileMap_M00_N00_M01_N01ILi128ELi128ES1V_Lb0EEENS1_30ComputePtrOffsetOfStridedBatchILi1ELi1ELi1EvEELb0ELb1EEEvPKT0_S3B_T1_PT2_T3_T4_T5_iT6_T7_T8_T9_T10_T11_
; %bb.0:
	s_clause 0x3
	s_load_b32 s2, s[0:1], 0x24
	s_load_b128 s[40:43], s[0:1], 0x260
	s_load_b32 s4, s[0:1], 0x2c8
	s_load_b128 s[44:47], s[0:1], 0x274
	v_lshrrev_b32_e32 v86, 1, v0
	s_mov_b32 s27, 0x31004000
	v_lshrrev_b32_e32 v94, 5, v0
	v_mov_b32_e32 v63, 0
	v_dual_mov_b32 v51, 0 :: v_dual_mov_b32 v50, 0
	v_dual_mov_b32 v73, 0 :: v_dual_mov_b32 v82, 0
	v_dual_mov_b32 v45, 0 :: v_dual_mov_b32 v48, 0
	v_dual_mov_b32 v61, 0 :: v_dual_mov_b32 v64, 0
	v_dual_mov_b32 v67, 0 :: v_dual_mov_b32 v42, 0
	v_mov_b32_e32 v59, 0
	v_dual_mov_b32 v41, 0 :: v_dual_mov_b32 v40, 0
	s_waitcnt lgkmcnt(0)
	s_abs_i32 s3, s2
	s_abs_i32 s7, s4
	v_cvt_f32_u32_e32 v1, s3
	s_sub_i32 s6, 0, s3
	s_xor_b32 s2, s4, s2
	v_dual_mov_b32 v35, 0 :: v_dual_mov_b32 v66, 0
	s_delay_alu instid0(VALU_DEP_2)
	v_rcp_iflag_f32_e32 v1, v1
	s_ashr_i32 s2, s2, 31
	v_mov_b32_e32 v83, 0
	v_mov_b32_e32 v49, 0
	v_dual_mov_b32 v81, 0 :: v_dual_mov_b32 v62, 0
	v_dual_mov_b32 v47, 0 :: v_dual_mov_b32 v58, 0
	;; [unrolled: 1-line block ×3, first 2 shown]
	s_waitcnt_depctr 0xfff
	v_mul_f32_e32 v1, 0x4f7ffffe, v1
	v_dual_mov_b32 v75, 0 :: v_dual_mov_b32 v56, 0
	v_dual_mov_b32 v43, 0 :: v_dual_mov_b32 v30, 0
	s_delay_alu instid0(VALU_DEP_3) | instskip(SKIP_2) | instid1(VALU_DEP_3)
	v_cvt_u32_f32_e32 v1, v1
	v_dual_mov_b32 v71, 0 :: v_dual_mov_b32 v54, 0
	v_dual_mov_b32 v69, 0 :: v_dual_mov_b32 v36, 0
	v_readfirstlane_b32 s5, v1
	v_dual_mov_b32 v39, 0 :: v_dual_mov_b32 v78, 0
	v_dual_mov_b32 v25, 0 :: v_dual_mov_b32 v76, 0
	s_delay_alu instid0(VALU_DEP_3)
	s_mul_i32 s6, s6, s5
	v_dual_mov_b32 v55, 0 :: v_dual_mov_b32 v24, 0
	s_mul_hi_u32 s6, s5, s6
	v_dual_mov_b32 v31, 0 :: v_dual_mov_b32 v72, 0
	s_add_i32 s5, s5, s6
	v_dual_mov_b32 v53, 0 :: v_dual_mov_b32 v70, 0
	s_mul_hi_u32 s5, s7, s5
	v_dual_mov_b32 v37, 0 :: v_dual_mov_b32 v28, 0
	s_mul_i32 s4, s5, s3
	s_add_i32 s6, s5, 1
	s_sub_i32 s4, s7, s4
	v_dual_mov_b32 v23, 0 :: v_dual_mov_b32 v32, 0
	s_sub_i32 s7, s4, s3
	s_cmp_ge_u32 s4, s3
	v_dual_mov_b32 v27, 0 :: v_dual_mov_b32 v38, 0
	s_cselect_b32 s5, s6, s5
	s_cselect_b32 s4, s7, s4
	s_add_i32 s6, s5, 1
	s_cmp_ge_u32 s4, s3
	v_mov_b32_e32 v80, 0
	s_cselect_b32 s3, s6, s5
	s_abs_i32 s24, s15
	s_xor_b32 s3, s3, s2
	s_clause 0x1
	s_load_b128 s[36:39], s[0:1], 0x38
	s_load_b256 s[4:11], s[0:1], 0x0
	s_sub_i32 s13, s3, s2
	s_load_b64 s[2:3], s[0:1], 0xc8
	s_abs_i32 s12, s13
	s_xor_b32 s13, s15, s13
	v_cvt_f32_u32_e32 v1, s12
	s_sub_i32 s14, 0, s12
	s_ashr_i32 s13, s13, 31
	v_lshlrev_b32_e32 v95, 1, v0
	v_mov_b32_e32 v33, 0
	v_rcp_iflag_f32_e32 v1, v1
	v_dual_mov_b32 v57, 0 :: v_dual_mov_b32 v52, 0
	s_delay_alu instid0(VALU_DEP_3) | instskip(SKIP_4) | instid1(TRANS32_DEP_1)
	v_and_b32_e32 v96, 0x1f8, v95
	v_mov_b32_e32 v74, 0
	v_dual_mov_b32 v68, 0 :: v_dual_mov_b32 v29, 0
	v_mov_b32_e32 v46, 0
	v_mov_b32_e32 v44, 0
	v_dual_mov_b32 v60, 0 :: v_dual_mul_f32 v1, 0x4f7ffffe, v1
	v_dual_mov_b32 v79, 0 :: v_dual_mov_b32 v34, 0
	v_mov_b32_e32 v84, 0
	s_delay_alu instid0(VALU_DEP_3) | instskip(NEXT) | instid1(VALU_DEP_1)
	v_cvt_u32_f32_e32 v1, v1
	v_readfirstlane_b32 s16, v1
	v_lshlrev_b32_e32 v1, 3, v0
	s_delay_alu instid0(VALU_DEP_2) | instskip(SKIP_2) | instid1(VALU_DEP_1)
	s_mul_i32 s17, s14, s16
	s_load_b32 s14, s[0:1], 0x100
	s_mul_hi_u32 s17, s16, s17
	v_and_b32_e32 v85, 8, v1
	s_add_i32 s25, s16, s17
	s_load_b256 s[16:23], s[0:1], 0x2a0
	s_mul_hi_u32 s25, s24, s25
	s_delay_alu instid0(SALU_CYCLE_1)
	s_mul_i32 s26, s25, s12
	s_add_i32 s28, s25, 1
	s_sub_i32 s24, s24, s26
	s_load_b32 s26, s[0:1], 0x128
	s_sub_i32 s29, s24, s12
	s_cmp_ge_u32 s24, s12
	v_or_b32_e32 v1, 4, v85
	s_cselect_b32 s25, s28, s25
	s_cselect_b32 s24, s29, s24
	s_add_i32 s28, s25, 1
	s_cmp_ge_u32 s24, s12
	s_cselect_b32 s12, s28, s25
	s_load_b128 s[28:31], s[0:1], 0x288
	s_xor_b32 s12, s12, s13
	s_delay_alu instid0(SALU_CYCLE_1) | instskip(NEXT) | instid1(SALU_CYCLE_1)
	s_sub_i32 s33, s12, s13
	s_ashr_i32 s13, s33, 31
	s_waitcnt lgkmcnt(0)
	s_mul_hi_u32 s25, s16, s33
	s_mul_i32 s12, s16, s33
	s_mul_hi_u32 s48, s20, s33
	s_mul_i32 s16, s16, s13
	s_mul_i32 s49, s18, s13
	;; [unrolled: 1-line block ×5, first 2 shown]
	s_add_i32 s16, s25, s16
	s_add_i32 s25, s48, s13
	s_mul_hi_u32 s34, s18, s33
	s_mul_hi_u32 s35, s22, s33
	s_mul_i32 s17, s17, s33
	s_mul_i32 s24, s20, s33
	s_add_i32 s25, s25, s21
	s_mul_i32 s19, s19, s33
	s_mul_i32 s23, s23, s33
	s_add_i32 s20, s34, s49
	s_add_i32 s34, s35, s50
	;; [unrolled: 1-line block ×3, first 2 shown]
	s_lshl_b64 s[16:17], s[24:25], 1
	s_add_i32 s19, s20, s19
	s_add_i32 s23, s34, s23
	s_add_u32 s16, s8, s16
	s_addc_u32 s17, s9, s17
	s_lshl_b64 s[8:9], s[12:13], 1
	s_mul_i32 s18, s18, s33
	s_add_u32 s24, s4, s8
	s_load_b32 s8, s[0:1], 0x244
	s_addc_u32 s25, s5, s9
	s_lshl_b64 s[4:5], s[18:19], 1
	s_mul_i32 s22, s22, s33
	s_add_u32 s20, s6, s4
	s_addc_u32 s21, s7, s5
	s_lshl_b64 s[4:5], s[22:23], 1
	s_mul_hi_u32 s6, s47, s15
	s_add_u32 s12, s10, s4
	s_addc_u32 s13, s11, s5
	s_add_i32 s4, s15, s6
	s_load_b32 s50, s[0:1], 0xf0
	s_lshr_b32 s33, s4, s31
	v_mul_lo_u32 v99, s14, v1
	s_mul_hi_u32 s6, s33, s46
	s_clause 0x1
	s_load_b64 s[22:23], s[0:1], 0xa0
	s_load_b64 s[34:35], s[0:1], 0xac
	s_add_i32 s6, s33, s6
	v_mul_lo_u32 v98, s14, v85
	s_lshr_b32 s46, s6, s30
	s_load_b64 s[6:7], s[0:1], 0xd4
	s_mul_hi_u32 s9, s46, s45
	s_load_b64 s[4:5], s[0:1], 0xbc
	s_add_i32 s9, s46, s9
	v_mul_hi_u32 v2, v99, s3
	s_lshr_b32 s45, s9, s29
	s_mul_i32 s10, s46, s42
	s_mul_hi_u32 s9, s45, s44
	s_sub_i32 s10, s33, s10
	s_add_i32 s9, s45, s9
	v_mul_hi_u32 v1, v98, s3
	s_lshr_b32 s9, s9, s28
	v_add_nc_u32_e32 v2, v99, v2
	s_mul_i32 s9, s9, s40
	s_clause 0x1
	s_load_b32 s40, s[0:1], 0x138
	s_load_b32 s47, s[0:1], 0x160
	s_sub_i32 s9, s45, s9
	s_clause 0x1
	s_load_b128 s[28:31], s[0:1], 0x4c
	s_load_b64 s[18:19], s[0:1], 0x5c
	s_waitcnt lgkmcnt(0)
	s_mul_i32 s9, s9, s8
	v_add_nc_u32_e32 v1, v98, v1
	s_add_i32 s10, s10, s9
	v_lshrrev_b32_e32 v2, s7, v2
	s_lshl_b32 s44, s10, 7
	s_clause 0x1
	s_load_b32 s42, s[0:1], 0x254
	s_load_b64 s[8:9], s[0:1], 0x74
	v_or_b32_e32 v89, s44, v86
	v_lshrrev_b32_e32 v1, s7, v1
	v_mul_hi_u32 v5, v2, s2
	s_clause 0x1
	s_load_b64 s[10:11], s[0:1], 0x84
	s_load_b64 s[48:49], s[0:1], 0x94
	v_mul_lo_u32 v7, v2, s5
	v_mul_hi_u32 v3, v89, s23
	v_mul_hi_u32 v4, v1, s2
	v_mul_lo_u32 v6, v1, s5
	s_mul_i32 s45, s45, s41
	s_mul_i32 s33, s33, s43
	v_add_nc_u32_e32 v5, v2, v5
	s_sub_i32 s15, s15, s33
	v_sub_nc_u32_e32 v101, v99, v7
	v_add_nc_u32_e32 v3, v89, v3
	v_add_nc_u32_e32 v4, v1, v4
	v_lshrrev_b32_e32 v100, s6, v5
	v_sub_nc_u32_e32 v6, v98, v6
	v_mul_lo_u32 v21, s47, v85
	v_lshrrev_b32_e32 v3, s35, v3
	v_lshrrev_b32_e32 v4, s6, v4
	v_mul_lo_u32 v7, v100, s4
	v_sub_nc_u32_e32 v9, v101, v6
	s_mov_b32 s23, s27
	v_mul_hi_u32 v5, v3, s22
	v_mul_lo_u32 v8, v4, s4
	s_load_b32 s22, s[0:1], 0x188
	s_lshl_b32 s26, s26, 1
	v_cmp_gt_i32_e32 vcc_lo, s50, v98
	v_sub_nc_u32_e32 v102, v2, v7
	s_waitcnt lgkmcnt(0)
	v_mul_lo_u32 v7, v3, s49
	s_sub_i32 s31, s31, s19
	v_add_nc_u32_e32 v5, v3, v5
	v_sub_nc_u32_e32 v8, v1, v8
	v_mul_lo_u32 v1, v4, s8
	v_sub_nc_u32_e32 v4, v100, v4
	s_sub_i32 s19, s28, s30
	v_lshrrev_b32_e32 v5, s34, v5
	s_sub_i32 s34, s46, s45
	v_mul_lo_u32 v2, v8, s10
	s_mul_i32 s34, s34, s42
	v_sub_nc_u32_e32 v7, v89, v7
	v_mul_lo_u32 v10, v5, s48
	s_add_i32 s15, s15, s34
	v_sub_nc_u32_e32 v8, v102, v8
	s_lshl_b32 s43, s15, 7
	v_mul_lo_u32 v90, v4, s8
	v_or_b32_e32 v103, s43, v86
	v_mul_lo_u32 v13, v5, s36
	v_mul_lo_u32 v92, v8, s10
	v_sub_nc_u32_e32 v3, v3, v10
	s_lshl_b32 s46, s47, 2
	s_load_b32 s36, s[0:1], 0x200
	v_lshlrev_b32_e32 v86, 2, v86
	s_delay_alu instid0(VALU_DEP_2)
	v_mad_u64_u32 v[19:20], null, v7, s11, v[2:3]
	v_mad_u64_u32 v[17:18], null, v3, s9, v[1:2]
	;; [unrolled: 1-line block ×3, first 2 shown]
	s_load_b32 s40, s[0:1], 0x228
	v_mul_lo_u32 v2, v6, s39
	v_mul_lo_u32 v3, v9, s39
	v_subrev_nc_u32_e32 v6, s18, v19
	v_subrev_nc_u32_e32 v7, s29, v17
	s_lshl_b32 s22, s22, 1
	v_lshlrev_b32_e32 v8, 1, v1
	v_add_nc_u32_e32 v93, s46, v1
	v_or_b32_e32 v20, 16, v85
	s_mul_i32 s11, s47, 12
	v_mad_u64_u32 v[4:5], null, v6, s38, v[2:3]
	v_mul_lo_u32 v5, v7, s37
	buffer_load_b128 v[9:12], v8, s[20:23], 0 offen
	v_mul_lo_u32 v104, s14, v20
	v_mov_b32_e32 v18, 0
	v_mov_b32_e32 v22, 0
	v_mad_u64_u32 v[1:2], null, v90, s37, v[3:4]
	v_mul_lo_u32 v2, v92, s38
	v_add3_u32 v4, v4, v13, v5
	v_lshlrev_b32_e32 v3, 1, v93
	v_mul_hi_u32 v20, v104, s3
	v_mov_b32_e32 v65, 0
	v_lshl_add_u32 v105, s14, 2, v104
	v_add_nc_u32_e32 v92, v19, v92
	buffer_load_b128 v[13:16], v3, s[20:23], 0 offen
	v_add3_u32 v91, v1, v2, v4
	v_lshlrev_b32_e32 v1, 1, v4
	v_mul_hi_u32 v87, v105, s3
	v_add_nc_u32_e32 v20, v104, v20
	s_delay_alu instid0(VALU_DEP_4)
	v_lshlrev_b32_e32 v2, 1, v91
	s_clause 0x1
	buffer_load_b128 v[5:8], v1, s[24:27], 0 offen
	buffer_load_b128 v[1:4], v2, s[24:27], 0 offen
	v_lshrrev_b32_e32 v20, s7, v20
	v_add_nc_u32_e32 v87, v105, v87
	s_clause 0x8
	s_load_b32 s48, s[0:1], 0x144
	s_load_b32 s49, s[0:1], 0x150
	s_load_b64 s[14:15], s[0:1], 0x198
	s_load_b32 s41, s[0:1], 0x1a4
	s_load_b32 s42, s[0:1], 0x1b0
	;; [unrolled: 1-line block ×4, first 2 shown]
	s_load_b64 s[34:35], s[0:1], 0x1e8
	s_load_b32 s33, s[0:1], 0x1f4
	v_mul_hi_u32 v88, v20, s2
	v_lshrrev_b32_e32 v106, s7, v87
	v_mul_lo_u32 v108, v20, s5
	v_cmp_gt_i32_e64 s1, s50, v99
	v_cmp_gt_i32_e64 s0, s50, v105
	s_delay_alu instid0(VALU_DEP_4) | instskip(SKIP_3) | instid1(VALU_DEP_2)
	v_mul_hi_u32 v97, v106, s2
	v_cmp_gt_i32_e64 s2, s50, v104
	v_add_nc_u32_e32 v87, v20, v88
	v_lshlrev_b32_e32 v88, 6, v94
	v_lshrrev_b32_e32 v107, s6, v87
	v_lshlrev_b32_e32 v87, 2, v0
	v_and_b32_e32 v0, 0x1fc, v95
	v_add_nc_u32_e32 v97, v106, v97
	v_sub_nc_u32_e32 v88, v96, v88
	v_mul_lo_u32 v95, v107, s4
	v_sub_nc_u32_e32 v100, v107, v100
	v_sub_nc_u32_e32 v96, v0, v96
	v_lshrrev_b32_e32 v109, s6, v97
	v_and_or_b32 v87, v87, 4, v88
	s_waitcnt lgkmcnt(0)
	v_cmp_gt_i32_e64 s3, s49, v21
	v_lshl_or_b32 v0, v85, 9, v86
	v_lshl_add_u32 v88, v94, 3, v96
	v_sub_nc_u32_e32 v20, v20, v95
	v_sub_nc_u32_e32 v94, v104, v108
	v_lshlrev_b32_e32 v86, 2, v87
	s_delay_alu instid0(VALU_DEP_4) | instskip(NEXT) | instid1(VALU_DEP_4)
	v_lshlrev_b32_e32 v85, 2, v88
	v_mad_u64_u32 v[95:96], null, v109, s4, v[20:21]
	s_delay_alu instid0(VALU_DEP_4) | instskip(SKIP_1) | instid1(VALU_DEP_3)
	v_sub_nc_u32_e32 v98, v94, v101
	v_sub_nc_u32_e32 v20, v20, v102
	v_mad_u64_u32 v[96:97], null, v106, s5, v[94:95]
	v_sub_nc_u32_e32 v97, v109, v107
	v_sub_nc_u32_e32 v95, v106, v95
	v_cmp_gt_i32_e64 s5, s48, v103
	s_delay_alu instid0(VALU_DEP_3) | instskip(NEXT) | instid1(VALU_DEP_3)
	v_mul_lo_u32 v94, v97, s8
	v_mul_lo_u32 v97, v95, s10
	v_sub_nc_u32_e32 v101, v105, v96
	v_mul_lo_u32 v95, v98, s39
	v_mul_lo_u32 v96, v100, s8
	;; [unrolled: 1-line block ×3, first 2 shown]
	s_and_b32 s3, s3, s5
	v_mul_lo_u32 v99, v101, s39
	v_add_nc_u32_e32 v101, s46, v21
	v_mul_lo_u32 v100, v94, s37
	v_mul_lo_u32 v102, v97, s38
	v_cmp_le_i32_e64 s8, s18, v19
	v_mad_u64_u32 v[20:21], null, v96, s37, v[95:96]
	v_add_nc_u32_e32 v104, s11, v101
	v_cmp_gt_i32_e64 s4, s49, v101
	v_cmp_le_i32_e64 s10, s18, v92
	v_mul_lo_u32 v95, v98, s38
	v_add3_u32 v21, v100, v99, v102
	v_add_nc_u32_e32 v99, s46, v104
	v_cmp_gt_i32_e64 s7, s49, v104
	s_and_b32 s4, s4, s5
	s_delay_alu instid0(VALU_DEP_2) | instskip(NEXT) | instid1(VALU_DEP_2)
	v_cmp_gt_i32_e64 s6, s49, v99
	s_and_b32 s7, s7, s5
	s_delay_alu instid0(VALU_DEP_1)
	s_and_b32 s5, s6, s5
	v_cmp_gt_i32_e64 s6, s9, v89
	v_cmp_gt_i32_e64 s9, s31, v19
	v_add_nc_u32_e32 v19, v92, v98
	v_add_nc_u32_e32 v89, s11, v93
	v_cmp_gt_i32_e64 s11, s31, v92
	s_delay_alu instid0(VALU_DEP_4) | instskip(NEXT) | instid1(VALU_DEP_3)
	s_and_b32 s28, s8, s9
	v_add_nc_u32_e32 v93, v19, v97
	v_cmp_le_i32_e64 s8, s18, v19
	v_cmp_gt_i32_e64 s9, s31, v19
	s_and_b32 s10, s10, s11
	s_and_b32 s11, vcc_lo, s28
	s_and_b32 s10, s1, s10
	v_cmp_le_i32_e32 vcc_lo, s18, v93
	v_cmp_gt_i32_e64 s1, s31, v93
	v_add_nc_u32_e32 v19, v17, v90
	s_and_b32 s8, s8, s9
	v_lshlrev_b32_e32 v92, 1, v89
	s_and_b32 s18, s2, s8
	v_cmp_le_i32_e64 s2, s29, v17
	v_cmp_gt_i32_e64 s8, s19, v17
	s_and_b32 s9, vcc_lo, s1
	v_add_nc_u32_e32 v17, v19, v96
	v_cmp_le_i32_e32 vcc_lo, s29, v19
	v_cmp_gt_i32_e64 s1, s19, v19
	s_and_b32 s28, s0, s9
	s_and_b32 s0, s2, s8
	v_add_nc_u32_e32 v19, v17, v94
	s_and_b32 s8, s11, s0
	s_and_b32 s9, vcc_lo, s1
	v_cmp_le_i32_e32 vcc_lo, s29, v17
	v_cmp_gt_i32_e64 s0, s19, v17
	v_add3_u32 v17, v20, v95, v91
	s_and_b32 s9, s10, s9
	s_and_b32 s8, s6, s8
	v_cmp_le_i32_e64 s1, s29, v19
	v_cmp_gt_i32_e64 s2, s19, v19
	v_lshlrev_b32_e32 v19, 1, v17
	s_and_b32 s9, s6, s9
	v_add_lshl_u32 v17, v21, v17, 1
	v_add_lshl_u32 v89, v89, s46, 1
	s_and_b32 s0, vcc_lo, s0
	s_and_b32 s1, s1, s2
	s_and_b32 s0, s18, s0
	;; [unrolled: 1-line block ×4, first 2 shown]
	s_and_b32 vcc_lo, s6, s1
	s_lshl_b32 s18, s45, 1
	s_mov_b32 s19, s27
	s_waitcnt vmcnt(3)
	v_cndmask_b32_e64 v10, 0, v10, s3
	v_cndmask_b32_e64 v9, 0, v9, s3
	;; [unrolled: 1-line block ×4, first 2 shown]
	s_waitcnt vmcnt(2)
	v_cndmask_b32_e64 v16, 0, v16, s4
	v_cndmask_b32_e64 v15, 0, v15, s4
	;; [unrolled: 1-line block ×4, first 2 shown]
	ds_store_2addr_stride64_b32 v0, v9, v10 offset0:64 offset1:66
	ds_store_2addr_stride64_b32 v0, v11, v12 offset0:68 offset1:70
	;; [unrolled: 1-line block ×3, first 2 shown]
	s_add_i32 s4, s35, s34
	s_waitcnt vmcnt(1)
	v_cndmask_b32_e64 v6, 0, v6, s8
	v_cndmask_b32_e64 v5, 0, v5, s8
	;; [unrolled: 1-line block ×4, first 2 shown]
	s_waitcnt vmcnt(0)
	v_cndmask_b32_e64 v2, 0, v2, s9
	v_cndmask_b32_e64 v1, 0, v1, s9
	;; [unrolled: 1-line block ×4, first 2 shown]
	ds_store_2addr_stride64_b32 v0, v15, v16 offset0:76 offset1:78
	ds_store_2addr_stride64_b32 v0, v5, v6 offset1:2
	ds_store_2addr_stride64_b32 v0, v7, v8 offset0:4 offset1:6
	ds_store_2addr_stride64_b32 v0, v1, v2 offset0:8 offset1:10
	ds_store_2addr_stride64_b32 v0, v3, v4 offset0:12 offset1:14
	s_waitcnt lgkmcnt(0)
	s_barrier
	s_clause 0x1
	buffer_load_b128 v[3:6], v19, s[24:27], 0 offen
	buffer_load_b128 v[7:10], v17, s[24:27], 0 offen
	s_clause 0x1
	buffer_load_b128 v[11:14], v92, s[20:23], 0 offen
	buffer_load_b128 v[89:92], v89, s[20:23], 0 offen
	ds_load_b128 v[93:96], v86 offset:16384
	ds_load_b128 v[97:100], v86 offset:16640
	ds_load_b128 v[101:104], v85
	ds_load_b128 v[105:108], v85 offset:256
	ds_load_b128 v[109:112], v86 offset:16896
	;; [unrolled: 1-line block ×21, first 2 shown]
	s_waitcnt lgkmcnt(21)
	v_dual_dot2acc_f32_f16 v40, v104, v100 :: v_dual_dot2acc_f32_f16 v79, v101, v93
	v_dot2acc_f32_f16 v80, v101, v94
	v_dot2acc_f32_f16 v51, v101, v95
	v_dual_dot2acc_f32_f16 v52, v101, v96 :: v_dual_dot2acc_f32_f16 v73, v102, v93
	v_dot2acc_f32_f16 v74, v102, v94
	v_dot2acc_f32_f16 v45, v102, v95
	v_dual_dot2acc_f32_f16 v46, v102, v96 :: v_dual_dot2acc_f32_f16 v67, v103, v93
	s_waitcnt lgkmcnt(20)
	v_dot2acc_f32_f16 v66, v105, v94
	v_dot2acc_f32_f16 v68, v103, v94
	v_dual_dot2acc_f32_f16 v41, v103, v95 :: v_dual_dot2acc_f32_f16 v22, v105, v96
	v_dot2acc_f32_f16 v44, v103, v96
	v_dot2acc_f32_f16 v60, v104, v93
	v_dual_dot2acc_f32_f16 v61, v104, v94 :: v_dual_dot2acc_f32_f16 v18, v105, v95
	v_dot2acc_f32_f16 v34, v104, v95
	v_dual_dot2acc_f32_f16 v35, v104, v96 :: v_dual_dot2acc_f32_f16 v62, v106, v93
	;; [unrolled: 2-line block ×3, first 2 shown]
	v_dual_dot2acc_f32_f16 v49, v101, v99 :: v_dual_dot2acc_f32_f16 v58, v106, v94
	v_dot2acc_f32_f16 v50, v101, v100
	v_dot2acc_f32_f16 v82, v102, v97
	v_dual_dot2acc_f32_f16 v81, v102, v98 :: v_dual_dot2acc_f32_f16 v30, v107, v95
	v_dual_dot2acc_f32_f16 v47, v102, v99 :: v_dual_dot2acc_f32_f16 v56, v107, v94
	;; [unrolled: 1-line block ×4, first 2 shown]
	v_dot2acc_f32_f16 v54, v108, v93
	v_dot2acc_f32_f16 v42, v103, v99
	v_dual_dot2acc_f32_f16 v43, v103, v100 :: v_dual_dot2acc_f32_f16 v78, v105, v97
	v_dual_dot2acc_f32_f16 v71, v104, v97 :: v_dual_dot2acc_f32_f16 v76, v105, v98
	;; [unrolled: 1-line block ×4, first 2 shown]
	s_waitcnt lgkmcnt(17)
	v_dual_dot2acc_f32_f16 v25, v106, v95 :: v_dual_dot2acc_f32_f16 v80, v117, v110
	v_dual_dot2acc_f32_f16 v55, v107, v93 :: v_dual_dot2acc_f32_f16 v70, v106, v98
	;; [unrolled: 1-line block ×13, first 2 shown]
	v_dot2acc_f32_f16 v64, v105, v93
	v_dual_dot2acc_f32_f16 v79, v117, v109 :: v_dual_dot2acc_f32_f16 v48, v118, v116
	v_dual_dot2acc_f32_f16 v51, v117, v111 :: v_dual_dot2acc_f32_f16 v82, v118, v113
	;; [unrolled: 1-line block ×4, first 2 shown]
	s_waitcnt lgkmcnt(16)
	v_dual_dot2acc_f32_f16 v67, v119, v109 :: v_dual_dot2acc_f32_f16 v66, v121, v110
	v_dual_dot2acc_f32_f16 v41, v119, v111 :: v_dual_dot2acc_f32_f16 v64, v121, v109
	;; [unrolled: 1-line block ×19, first 2 shown]
	s_waitcnt lgkmcnt(13)
	v_dual_dot2acc_f32_f16 v23, v121, v115 :: v_dual_dot2acc_f32_f16 v74, v134, v126
	v_dual_dot2acc_f32_f16 v27, v122, v115 :: v_dual_dot2acc_f32_f16 v80, v133, v126
	;; [unrolled: 1-line block ×8, first 2 shown]
	ds_load_b128 v[101:104], v86 offset:19456
	ds_load_b128 v[93:96], v86 offset:19712
	;; [unrolled: 1-line block ×4, first 2 shown]
	v_dual_dot2acc_f32_f16 v79, v133, v125 :: v_dual_dot2acc_f32_f16 v34, v136, v127
	v_dual_dot2acc_f32_f16 v51, v133, v127 :: v_dual_dot2acc_f32_f16 v82, v134, v129
	;; [unrolled: 1-line block ×7, first 2 shown]
	s_waitcnt lgkmcnt(16)
	v_dual_dot2acc_f32_f16 v35, v136, v128 :: v_dual_dot2acc_f32_f16 v64, v137, v125
	v_dual_dot2acc_f32_f16 v83, v133, v130 :: v_dual_dot2acc_f32_f16 v62, v138, v125
	;; [unrolled: 1-line block ×17, first 2 shown]
	s_waitcnt lgkmcnt(13)
	v_dual_dot2acc_f32_f16 v27, v138, v131 :: v_dual_dot2acc_f32_f16 v80, v149, v142
	v_dual_dot2acc_f32_f16 v65, v139, v129 :: v_dual_dot2acc_f32_f16 v38, v140, v131
	v_dual_dot2acc_f32_f16 v63, v139, v130 :: v_dual_dot2acc_f32_f16 v52, v149, v144
	v_dual_dot2acc_f32_f16 v32, v139, v131 :: v_dual_dot2acc_f32_f16 v57, v140, v129
	v_dual_dot2acc_f32_f16 v33, v139, v132 :: v_dual_dot2acc_f32_f16 v74, v150, v142
	v_dual_dot2acc_f32_f16 v59, v140, v130 :: v_dual_dot2acc_f32_f16 v46, v150, v144
	v_dual_dot2acc_f32_f16 v29, v140, v132 :: v_dual_dot2acc_f32_f16 v68, v151, v142
	v_dual_dot2acc_f32_f16 v79, v149, v141 :: v_dual_dot2acc_f32_f16 v44, v151, v144
	v_dual_dot2acc_f32_f16 v51, v149, v143 :: v_dual_dot2acc_f32_f16 v60, v152, v141
	v_dual_dot2acc_f32_f16 v73, v150, v141 :: v_dual_dot2acc_f32_f16 v34, v152, v143
	v_dual_dot2acc_f32_f16 v45, v150, v143 :: v_dual_dot2acc_f32_f16 v84, v149, v145
	v_dual_dot2acc_f32_f16 v67, v151, v141 :: v_dual_dot2acc_f32_f16 v50, v149, v148
	v_dual_dot2acc_f32_f16 v41, v151, v143 :: v_dual_dot2acc_f32_f16 v82, v150, v145
	v_dual_dot2acc_f32_f16 v61, v152, v142 :: v_dual_dot2acc_f32_f16 v48, v150, v148
	v_dual_dot2acc_f32_f16 v35, v152, v144 :: v_dual_dot2acc_f32_f16 v42, v151, v147
	v_dual_dot2acc_f32_f16 v83, v149, v146 :: v_dual_dot2acc_f32_f16 v40, v152, v148
	s_waitcnt lgkmcnt(12)
	v_dual_dot2acc_f32_f16 v49, v149, v147 :: v_dual_dot2acc_f32_f16 v62, v154, v141
	v_dual_dot2acc_f32_f16 v81, v150, v146 :: v_dual_dot2acc_f32_f16 v64, v153, v141
	v_dual_dot2acc_f32_f16 v47, v150, v147 :: v_dual_dot2acc_f32_f16 v66, v153, v142
	v_dual_dot2acc_f32_f16 v77, v151, v145 :: v_dual_dot2acc_f32_f16 v18, v153, v143
	v_dual_dot2acc_f32_f16 v75, v151, v146 :: v_dual_dot2acc_f32_f16 v22, v153, v144
	v_dual_dot2acc_f32_f16 v43, v151, v148 :: v_dual_dot2acc_f32_f16 v58, v154, v142
	v_dual_dot2acc_f32_f16 v71, v152, v145 :: v_dual_dot2acc_f32_f16 v26, v154, v144
	v_dual_dot2acc_f32_f16 v69, v152, v146 :: v_dual_dot2acc_f32_f16 v30, v155, v143
	v_dual_dot2acc_f32_f16 v39, v152, v147 :: v_dual_dot2acc_f32_f16 v56, v155, v142
	v_dual_dot2acc_f32_f16 v25, v154, v143 :: v_dual_dot2acc_f32_f16 v54, v156, v141
	v_dual_dot2acc_f32_f16 v55, v155, v141 :: v_dual_dot2acc_f32_f16 v36, v156, v143
	v_dual_dot2acc_f32_f16 v31, v155, v144 :: v_dual_dot2acc_f32_f16 v78, v153, v145
	v_dual_dot2acc_f32_f16 v53, v156, v142 :: v_dual_dot2acc_f32_f16 v24, v153, v148
	v_dual_dot2acc_f32_f16 v37, v156, v144 :: v_dual_dot2acc_f32_f16 v76, v153, v146
	v_dual_dot2acc_f32_f16 v23, v153, v147 :: v_dual_dot2acc_f32_f16 v72, v154, v145
	v_dual_dot2acc_f32_f16 v70, v154, v146 :: v_dual_dot2acc_f32_f16 v65, v155, v145
	;; [unrolled: 17-line block ×3, first 2 shown]
	v_dual_dot2acc_f32_f16 v81, v166, v162 :: v_dual_dot2acc_f32_f16 v42, v167, v163
	s_waitcnt lgkmcnt(8)
	v_dual_dot2acc_f32_f16 v47, v166, v163 :: v_dual_dot2acc_f32_f16 v64, v169, v157
	v_dual_dot2acc_f32_f16 v77, v167, v161 :: v_dual_dot2acc_f32_f16 v66, v169, v158
	;; [unrolled: 1-line block ×18, first 2 shown]
	s_waitcnt lgkmcnt(5)
	v_dual_dot2acc_f32_f16 v59, v172, v162 :: v_dual_dot2acc_f32_f16 v52, v181, v176
	v_dual_dot2acc_f32_f16 v38, v172, v163 :: v_dual_dot2acc_f32_f16 v79, v181, v173
	;; [unrolled: 1-line block ×14, first 2 shown]
	s_waitcnt lgkmcnt(4)
	v_dual_dot2acc_f32_f16 v77, v183, v177 :: v_dual_dot2acc_f32_f16 v66, v185, v174
	v_dual_dot2acc_f32_f16 v75, v183, v178 :: v_dual_dot2acc_f32_f16 v64, v185, v173
	;; [unrolled: 1-line block ×17, first 2 shown]
	s_waitcnt lgkmcnt(1)
	v_dual_dot2acc_f32_f16 v38, v188, v179 :: v_dual_dot2acc_f32_f16 v79, v97, v101
	ds_load_b128 v[117:120], v85 offset:3584
	v_dual_dot2acc_f32_f16 v80, v97, v102 :: v_dual_dot2acc_f32_f16 v73, v98, v101
	v_dual_dot2acc_f32_f16 v51, v97, v103 :: v_dual_dot2acc_f32_f16 v74, v98, v102
	;; [unrolled: 1-line block ×14, first 2 shown]
	s_waitcnt lgkmcnt(1)
	v_dual_dot2acc_f32_f16 v43, v99, v96 :: v_dual_dot2acc_f32_f16 v64, v105, v101
	v_dual_dot2acc_f32_f16 v69, v100, v94 :: v_dual_dot2acc_f32_f16 v18, v105, v103
	;; [unrolled: 1-line block ×3, first 2 shown]
	v_dot2acc_f32_f16 v56, v107, v102
	v_dot2acc_f32_f16 v30, v107, v103
	v_dual_dot2acc_f32_f16 v54, v108, v101 :: v_dual_dot2acc_f32_f16 v23, v105, v95
	s_waitcnt vmcnt(3)
	v_cndmask_b32_e64 v1, 0, v6, s0
	v_cndmask_b32_e64 v2, 0, v5, s0
	;; [unrolled: 1-line block ×3, first 2 shown]
	s_waitcnt vmcnt(2)
	v_cndmask_b32_e32 v3, 0, v10, vcc_lo
	v_dual_cndmask_b32 v5, 0, v9 :: v_dual_cndmask_b32 v8, 0, v8
	v_dot2acc_f32_f16 v27, v106, v95
	v_dual_cndmask_b32 v10, 0, v7 :: v_dual_dot2acc_f32_f16 v37, v108, v104
	s_waitcnt vmcnt(1)
	v_cndmask_b32_e64 v7, 0, v14, s7
	v_cndmask_b32_e64 v9, 0, v13, s7
	;; [unrolled: 1-line block ×3, first 2 shown]
	s_waitcnt vmcnt(0)
	v_cndmask_b32_e64 v11, 0, v92, s5
	v_cndmask_b32_e64 v13, 0, v91, s5
	;; [unrolled: 1-line block ×4, first 2 shown]
	v_dual_dot2acc_f32_f16 v36, v108, v103 :: v_dual_dot2acc_f32_f16 v65, v107, v93
	ds_load_b128 v[89:92], v86 offset:19968
	ds_load_b128 v[97:100], v86 offset:20224
	v_dual_dot2acc_f32_f16 v78, v105, v93 :: v_dual_dot2acc_f32_f16 v63, v107, v94
	v_dual_dot2acc_f32_f16 v76, v105, v94 :: v_dual_dot2acc_f32_f16 v33, v107, v96
	;; [unrolled: 1-line block ×5, first 2 shown]
	v_dot2acc_f32_f16 v28, v106, v96
	v_dot2acc_f32_f16 v32, v107, v95
	;; [unrolled: 1-line block ×3, first 2 shown]
	ds_load_b128 v[93:96], v85 offset:3840
	v_dual_dot2acc_f32_f16 v58, v186, v174 :: v_dual_dot2acc_f32_f16 v55, v187, v173
	v_dual_dot2acc_f32_f16 v26, v186, v176 :: v_dual_dot2acc_f32_f16 v53, v188, v174
	;; [unrolled: 1-line block ×4, first 2 shown]
	s_delay_alu instid0(VALU_DEP_4) | instskip(NEXT) | instid1(VALU_DEP_4)
	v_dual_dot2acc_f32_f16 v58, v106, v102 :: v_dual_dot2acc_f32_f16 v55, v107, v101
	v_dual_dot2acc_f32_f16 v26, v106, v104 :: v_dual_dot2acc_f32_f16 v53, v108, v102
	s_waitcnt lgkmcnt(2)
	v_dot2acc_f32_f16 v79, v117, v89
	v_dual_dot2acc_f32_f16 v80, v117, v90 :: v_dual_dot2acc_f32_f16 v45, v118, v91
	v_dual_dot2acc_f32_f16 v51, v117, v91 :: v_dual_dot2acc_f32_f16 v74, v118, v90
	;; [unrolled: 1-line block ×3, first 2 shown]
	v_dot2acc_f32_f16 v73, v118, v89
	v_dual_dot2acc_f32_f16 v46, v118, v92 :: v_dual_dot2acc_f32_f16 v61, v120, v90
	v_dot2acc_f32_f16 v67, v119, v89
	v_dual_dot2acc_f32_f16 v68, v119, v90 :: v_dual_dot2acc_f32_f16 v35, v120, v92
	s_waitcnt lgkmcnt(1)
	v_dual_dot2acc_f32_f16 v44, v119, v92 :: v_dual_dot2acc_f32_f16 v83, v117, v98
	v_dual_dot2acc_f32_f16 v60, v120, v89 :: v_dual_dot2acc_f32_f16 v49, v117, v99
	;; [unrolled: 1-line block ×3, first 2 shown]
	s_waitcnt lgkmcnt(0)
	v_dual_dot2acc_f32_f16 v43, v119, v100 :: v_dual_dot2acc_f32_f16 v64, v93, v89
	v_dual_dot2acc_f32_f16 v39, v120, v99 :: v_dual_dot2acc_f32_f16 v66, v93, v90
	;; [unrolled: 1-line block ×3, first 2 shown]
	ds_load_b128 v[101:104], v85 offset:4096
	v_dual_dot2acc_f32_f16 v18, v93, v91 :: v_dual_dot2acc_f32_f16 v55, v95, v89
	v_dual_dot2acc_f32_f16 v22, v93, v92 :: v_dual_dot2acc_f32_f16 v53, v96, v90
	;; [unrolled: 1-line block ×9, first 2 shown]
	ds_load_b128 v[105:108], v86 offset:20480
	ds_load_b128 v[89:92], v86 offset:20736
	v_dual_dot2acc_f32_f16 v78, v93, v97 :: v_dual_dot2acc_f32_f16 v33, v95, v100
	v_dual_dot2acc_f32_f16 v76, v93, v98 :: v_dual_dot2acc_f32_f16 v29, v96, v100
	;; [unrolled: 1-line block ×3, first 2 shown]
	v_dot2acc_f32_f16 v72, v94, v97
	v_dot2acc_f32_f16 v70, v94, v98
	;; [unrolled: 1-line block ×5, first 2 shown]
	ds_load_b128 v[93:96], v85 offset:4352
	v_dual_dot2acc_f32_f16 v84, v117, v97 :: v_dual_dot2acc_f32_f16 v47, v118, v99
	v_dual_dot2acc_f32_f16 v50, v117, v100 :: v_dual_dot2acc_f32_f16 v77, v119, v97
	;; [unrolled: 1-line block ×5, first 2 shown]
	s_waitcnt lgkmcnt(2)
	v_dot2acc_f32_f16 v79, v101, v105
	v_dual_dot2acc_f32_f16 v80, v101, v106 :: v_dual_dot2acc_f32_f16 v45, v102, v107
	v_dot2acc_f32_f16 v51, v101, v107
	v_dual_dot2acc_f32_f16 v52, v101, v108 :: v_dual_dot2acc_f32_f16 v41, v103, v107
	;; [unrolled: 2-line block ×3, first 2 shown]
	v_dual_dot2acc_f32_f16 v46, v102, v108 :: v_dual_dot2acc_f32_f16 v61, v104, v106
	v_dot2acc_f32_f16 v67, v103, v105
	s_waitcnt lgkmcnt(1)
	v_dual_dot2acc_f32_f16 v68, v103, v106 :: v_dual_dot2acc_f32_f16 v49, v101, v91
	v_dual_dot2acc_f32_f16 v44, v103, v108 :: v_dual_dot2acc_f32_f16 v81, v102, v90
	;; [unrolled: 1-line block ×5, first 2 shown]
	v_dot2acc_f32_f16 v83, v101, v90
	v_dual_dot2acc_f32_f16 v50, v101, v92 :: v_dual_dot2acc_f32_f16 v71, v104, v89
	v_dual_dot2acc_f32_f16 v82, v102, v89 :: v_dual_dot2acc_f32_f16 v43, v103, v92
	;; [unrolled: 1-line block ×3, first 2 shown]
	s_waitcnt lgkmcnt(0)
	v_dual_dot2acc_f32_f16 v42, v103, v91 :: v_dual_dot2acc_f32_f16 v53, v96, v106
	v_dual_dot2acc_f32_f16 v39, v104, v91 :: v_dual_dot2acc_f32_f16 v64, v93, v105
	;; [unrolled: 1-line block ×3, first 2 shown]
	ds_load_b128 v[97:100], v85 offset:4608
	v_dual_dot2acc_f32_f16 v66, v93, v106 :: v_dual_dot2acc_f32_f16 v55, v95, v105
	v_dual_dot2acc_f32_f16 v18, v93, v107 :: v_dual_dot2acc_f32_f16 v31, v95, v108
	;; [unrolled: 1-line block ×10, first 2 shown]
	ds_load_b128 v[101:104], v86 offset:20992
	ds_load_b128 v[105:108], v86 offset:21248
	v_dual_dot2acc_f32_f16 v78, v93, v89 :: v_dual_dot2acc_f32_f16 v29, v96, v92
	v_dot2acc_f32_f16 v76, v93, v90
	v_dot2acc_f32_f16 v24, v93, v92
	;; [unrolled: 1-line block ×7, first 2 shown]
	ds_load_b128 v[89:92], v85 offset:4864
	ds_load_b128 v[93:96], v85 offset:5120
	v_cndmask_b32_e64 v4, 0, v4, s0
	v_cndmask_b32_e64 v12, 0, v12, s7
	s_lshl_b32 s0, s15, 6
	v_add_nc_u32_e32 v17, s43, v87
	s_waitcnt lgkmcnt(3)
	v_dot2acc_f32_f16 v79, v97, v101
	v_dual_dot2acc_f32_f16 v80, v97, v102 :: v_dual_dot2acc_f32_f16 v41, v99, v103
	v_dot2acc_f32_f16 v51, v97, v103
	s_waitcnt lgkmcnt(2)
	v_dual_dot2acc_f32_f16 v52, v97, v104 :: v_dual_dot2acc_f32_f16 v81, v98, v106
	v_dot2acc_f32_f16 v73, v98, v101
	v_dual_dot2acc_f32_f16 v74, v98, v102 :: v_dual_dot2acc_f32_f16 v35, v100, v104
	v_dot2acc_f32_f16 v45, v98, v103
	;; [unrolled: 2-line block ×3, first 2 shown]
	v_dual_dot2acc_f32_f16 v68, v99, v102 :: v_dual_dot2acc_f32_f16 v47, v98, v107
	v_dual_dot2acc_f32_f16 v44, v99, v104 :: v_dual_dot2acc_f32_f16 v71, v100, v105
	v_dual_dot2acc_f32_f16 v60, v100, v101 :: v_dual_dot2acc_f32_f16 v75, v99, v106
	v_dot2acc_f32_f16 v61, v100, v102
	v_dual_dot2acc_f32_f16 v34, v100, v103 :: v_dual_dot2acc_f32_f16 v77, v99, v105
	v_dual_dot2acc_f32_f16 v84, v97, v105 :: v_dual_dot2acc_f32_f16 v43, v99, v108
	v_dot2acc_f32_f16 v83, v97, v106
	v_dual_dot2acc_f32_f16 v50, v97, v108 :: v_dual_dot2acc_f32_f16 v69, v100, v106
	v_dual_dot2acc_f32_f16 v82, v98, v105 :: v_dual_dot2acc_f32_f16 v39, v100, v107
	s_waitcnt lgkmcnt(1)
	v_dual_dot2acc_f32_f16 v48, v98, v108 :: v_dual_dot2acc_f32_f16 v55, v91, v101
	v_dual_dot2acc_f32_f16 v42, v99, v107 :: v_dual_dot2acc_f32_f16 v53, v92, v102
	;; [unrolled: 1-line block ×12, first 2 shown]
	ds_load_b128 v[97:100], v86 offset:21504
	v_dot2acc_f32_f16 v54, v92, v101
	v_dot2acc_f32_f16 v36, v92, v103
	v_dual_dot2acc_f32_f16 v78, v89, v105 :: v_dual_dot2acc_f32_f16 v29, v92, v108
	ds_load_b128 v[101:104], v86 offset:21760
	v_dot2acc_f32_f16 v76, v89, v106
	v_dot2acc_f32_f16 v24, v89, v108
	;; [unrolled: 1-line block ×7, first 2 shown]
	ds_load_b128 v[89:92], v85 offset:5376
	ds_load_b128 v[105:108], v86 offset:22016
	v_cmp_gt_i32_e32 vcc_lo, s42, v17
	s_waitcnt lgkmcnt(3)
	v_dot2acc_f32_f16 v79, v93, v97
	v_dot2acc_f32_f16 v80, v93, v98
	;; [unrolled: 1-line block ×3, first 2 shown]
	v_dual_dot2acc_f32_f16 v52, v93, v100 :: v_dual_dot2acc_f32_f16 v73, v94, v97
	s_waitcnt lgkmcnt(2)
	v_dot2acc_f32_f16 v81, v94, v102
	v_dual_dot2acc_f32_f16 v74, v94, v98 :: v_dual_dot2acc_f32_f16 v49, v93, v103
	v_dot2acc_f32_f16 v45, v94, v99
	v_dual_dot2acc_f32_f16 v46, v94, v100 :: v_dual_dot2acc_f32_f16 v77, v95, v101
	;; [unrolled: 2-line block ×4, first 2 shown]
	v_dual_dot2acc_f32_f16 v60, v96, v97 :: v_dual_dot2acc_f32_f16 v75, v95, v102
	v_dot2acc_f32_f16 v61, v96, v98
	v_dual_dot2acc_f32_f16 v34, v96, v99 :: v_dual_dot2acc_f32_f16 v43, v95, v104
	v_dual_dot2acc_f32_f16 v35, v96, v100 :: v_dual_dot2acc_f32_f16 v84, v93, v101
	v_dot2acc_f32_f16 v39, v96, v103
	v_dot2acc_f32_f16 v83, v93, v102
	s_waitcnt lgkmcnt(1)
	v_dual_dot2acc_f32_f16 v50, v93, v104 :: v_dual_dot2acc_f32_f16 v25, v90, v99
	v_dual_dot2acc_f32_f16 v82, v94, v101 :: v_dual_dot2acc_f32_f16 v31, v91, v100
	v_dot2acc_f32_f16 v47, v94, v103
	v_dual_dot2acc_f32_f16 v48, v94, v104 :: v_dual_dot2acc_f32_f16 v55, v91, v97
	v_dual_dot2acc_f32_f16 v42, v95, v103 :: v_dual_dot2acc_f32_f16 v53, v92, v98
	;; [unrolled: 1-line block ×3, first 2 shown]
	ds_load_b128 v[93:96], v85 offset:5632
	v_dual_dot2acc_f32_f16 v64, v89, v97 :: v_dual_dot2acc_f32_f16 v37, v92, v100
	v_dual_dot2acc_f32_f16 v66, v89, v98 :: v_dual_dot2acc_f32_f16 v27, v90, v103
	;; [unrolled: 1-line block ×8, first 2 shown]
	v_dot2acc_f32_f16 v30, v91, v99
	v_dot2acc_f32_f16 v54, v92, v97
	;; [unrolled: 1-line block ×3, first 2 shown]
	ds_load_b128 v[97:100], v86 offset:22272
	v_dot2acc_f32_f16 v78, v89, v101
	v_dot2acc_f32_f16 v76, v89, v102
	;; [unrolled: 1-line block ×8, first 2 shown]
	ds_load_b128 v[89:92], v85 offset:5888
	s_waitcnt lgkmcnt(2)
	v_dot2acc_f32_f16 v79, v93, v105
	v_dot2acc_f32_f16 v80, v93, v106
	;; [unrolled: 1-line block ×3, first 2 shown]
	v_dual_dot2acc_f32_f16 v52, v93, v108 :: v_dual_dot2acc_f32_f16 v73, v94, v105
	v_dot2acc_f32_f16 v74, v94, v106
	v_dot2acc_f32_f16 v45, v94, v107
	v_dual_dot2acc_f32_f16 v46, v94, v108 :: v_dual_dot2acc_f32_f16 v67, v95, v105
	s_waitcnt lgkmcnt(1)
	v_dual_dot2acc_f32_f16 v68, v95, v106 :: v_dual_dot2acc_f32_f16 v39, v96, v99
	v_dot2acc_f32_f16 v41, v95, v107
	v_dual_dot2acc_f32_f16 v44, v95, v108 :: v_dual_dot2acc_f32_f16 v69, v96, v98
	v_dual_dot2acc_f32_f16 v60, v96, v105 :: v_dual_dot2acc_f32_f16 v43, v95, v100
	v_dot2acc_f32_f16 v61, v96, v106
	v_dot2acc_f32_f16 v34, v96, v107
	;; [unrolled: 1-line block ×3, first 2 shown]
	s_waitcnt lgkmcnt(0)
	v_dot2acc_f32_f16 v55, v91, v105
	v_dual_dot2acc_f32_f16 v84, v93, v97 :: v_dual_dot2acc_f32_f16 v25, v90, v107
	v_dot2acc_f32_f16 v83, v93, v98
	v_dot2acc_f32_f16 v49, v93, v99
	v_dual_dot2acc_f32_f16 v50, v93, v100 :: v_dual_dot2acc_f32_f16 v53, v92, v106
	v_dual_dot2acc_f32_f16 v82, v94, v97 :: v_dual_dot2acc_f32_f16 v31, v91, v108
	v_dot2acc_f32_f16 v81, v94, v98
	v_dot2acc_f32_f16 v47, v94, v99
	v_dual_dot2acc_f32_f16 v48, v94, v100 :: v_dual_dot2acc_f32_f16 v23, v89, v99
	v_dot2acc_f32_f16 v77, v95, v97
	v_dot2acc_f32_f16 v75, v95, v98
	v_dual_dot2acc_f32_f16 v42, v95, v99 :: v_dual_dot2acc_f32_f16 v37, v92, v108
	v_dot2acc_f32_f16 v71, v96, v97
	v_dual_dot2acc_f32_f16 v40, v96, v100 :: v_dual_dot2acc_f32_f16 v27, v90, v99
	ds_load_b128 v[93:96], v85 offset:6144
	v_dual_dot2acc_f32_f16 v64, v89, v105 :: v_dual_dot2acc_f32_f16 v63, v91, v98
	v_dual_dot2acc_f32_f16 v66, v89, v106 :: v_dual_dot2acc_f32_f16 v65, v91, v97
	;; [unrolled: 1-line block ×6, first 2 shown]
	ds_load_b128 v[101:104], v86 offset:22528
	v_dot2acc_f32_f16 v26, v90, v108
	v_dot2acc_f32_f16 v56, v91, v106
	;; [unrolled: 1-line block ×5, first 2 shown]
	ds_load_b128 v[105:108], v86 offset:22784
	v_dot2acc_f32_f16 v78, v89, v97
	v_dot2acc_f32_f16 v76, v89, v98
	;; [unrolled: 1-line block ×8, first 2 shown]
	ds_load_b128 v[89:92], v85 offset:6400
	ds_load_b128 v[97:100], v86 offset:23040
	s_waitcnt lgkmcnt(3)
	v_dot2acc_f32_f16 v79, v93, v101
	v_dot2acc_f32_f16 v80, v93, v102
	v_dot2acc_f32_f16 v51, v93, v103
	v_dual_dot2acc_f32_f16 v52, v93, v104 :: v_dual_dot2acc_f32_f16 v73, v94, v101
	s_waitcnt lgkmcnt(2)
	v_dual_dot2acc_f32_f16 v74, v94, v102 :: v_dual_dot2acc_f32_f16 v43, v95, v108
	v_dot2acc_f32_f16 v45, v94, v103
	v_dual_dot2acc_f32_f16 v46, v94, v104 :: v_dual_dot2acc_f32_f16 v69, v96, v106
	v_dot2acc_f32_f16 v67, v95, v101
	;; [unrolled: 2-line block ×3, first 2 shown]
	s_waitcnt lgkmcnt(1)
	v_dual_dot2acc_f32_f16 v44, v95, v104 :: v_dual_dot2acc_f32_f16 v25, v90, v103
	v_dual_dot2acc_f32_f16 v60, v96, v101 :: v_dual_dot2acc_f32_f16 v31, v91, v104
	v_dot2acc_f32_f16 v61, v96, v102
	v_dual_dot2acc_f32_f16 v34, v96, v103 :: v_dual_dot2acc_f32_f16 v55, v91, v101
	v_dual_dot2acc_f32_f16 v35, v96, v104 :: v_dual_dot2acc_f32_f16 v84, v93, v105
	v_dot2acc_f32_f16 v53, v92, v102
	v_dot2acc_f32_f16 v83, v93, v106
	;; [unrolled: 1-line block ×3, first 2 shown]
	v_dual_dot2acc_f32_f16 v50, v93, v108 :: v_dual_dot2acc_f32_f16 v27, v90, v107
	v_dual_dot2acc_f32_f16 v82, v94, v105 :: v_dual_dot2acc_f32_f16 v37, v92, v104
	v_dot2acc_f32_f16 v81, v94, v106
	v_dot2acc_f32_f16 v47, v94, v107
	v_dual_dot2acc_f32_f16 v48, v94, v108 :: v_dual_dot2acc_f32_f16 v23, v89, v107
	v_dot2acc_f32_f16 v77, v95, v105
	v_dot2acc_f32_f16 v75, v95, v106
	v_dual_dot2acc_f32_f16 v42, v95, v107 :: v_dual_dot2acc_f32_f16 v57, v92, v105
	v_dot2acc_f32_f16 v71, v96, v105
	v_dual_dot2acc_f32_f16 v40, v96, v108 :: v_dual_dot2acc_f32_f16 v65, v91, v105
	ds_load_b128 v[93:96], v85 offset:6656
	v_dual_dot2acc_f32_f16 v64, v89, v101 :: v_dual_dot2acc_f32_f16 v63, v91, v106
	v_dual_dot2acc_f32_f16 v66, v89, v102 :: v_dual_dot2acc_f32_f16 v33, v91, v108
	v_dual_dot2acc_f32_f16 v18, v89, v103 :: v_dual_dot2acc_f32_f16 v59, v92, v106
	v_dot2acc_f32_f16 v22, v89, v104
	v_dual_dot2acc_f32_f16 v62, v90, v101 :: v_dual_dot2acc_f32_f16 v29, v92, v108
	v_dot2acc_f32_f16 v58, v90, v102
	v_dot2acc_f32_f16 v26, v90, v104
	v_dot2acc_f32_f16 v56, v91, v102
	v_dot2acc_f32_f16 v30, v91, v103
	v_dot2acc_f32_f16 v54, v92, v101
	v_dot2acc_f32_f16 v36, v92, v103
	ds_load_b128 v[101:104], v86 offset:23296
	v_dot2acc_f32_f16 v78, v89, v105
	v_dot2acc_f32_f16 v76, v89, v106
	;; [unrolled: 1-line block ×8, first 2 shown]
	ds_load_b128 v[89:92], v85 offset:6912
	s_waitcnt lgkmcnt(2)
	v_dot2acc_f32_f16 v79, v93, v97
	v_dot2acc_f32_f16 v80, v93, v98
	;; [unrolled: 1-line block ×3, first 2 shown]
	v_dual_dot2acc_f32_f16 v52, v93, v100 :: v_dual_dot2acc_f32_f16 v73, v94, v97
	v_dot2acc_f32_f16 v74, v94, v98
	v_dot2acc_f32_f16 v45, v94, v99
	v_dual_dot2acc_f32_f16 v46, v94, v100 :: v_dual_dot2acc_f32_f16 v67, v95, v97
	v_dot2acc_f32_f16 v68, v95, v98
	v_dot2acc_f32_f16 v41, v95, v99
	;; [unrolled: 1-line block ×6, first 2 shown]
	s_waitcnt lgkmcnt(1)
	v_dual_dot2acc_f32_f16 v35, v96, v100 :: v_dual_dot2acc_f32_f16 v84, v93, v101
	v_dot2acc_f32_f16 v83, v93, v102
	v_dot2acc_f32_f16 v49, v93, v103
	s_waitcnt lgkmcnt(0)
	v_dot2acc_f32_f16 v37, v92, v100
	v_dual_dot2acc_f32_f16 v50, v93, v104 :: v_dual_dot2acc_f32_f16 v27, v90, v103
	v_dual_dot2acc_f32_f16 v82, v94, v101 :: v_dual_dot2acc_f32_f16 v23, v89, v103
	v_dot2acc_f32_f16 v81, v94, v102
	v_dot2acc_f32_f16 v47, v94, v103
	v_dual_dot2acc_f32_f16 v48, v94, v104 :: v_dual_dot2acc_f32_f16 v63, v91, v102
	v_dot2acc_f32_f16 v77, v95, v101
	v_dot2acc_f32_f16 v75, v95, v102
	v_dual_dot2acc_f32_f16 v42, v95, v103 :: v_dual_dot2acc_f32_f16 v57, v92, v101
	v_dot2acc_f32_f16 v43, v95, v104
	v_dot2acc_f32_f16 v71, v96, v101
	v_dot2acc_f32_f16 v69, v96, v102
	v_dual_dot2acc_f32_f16 v39, v96, v103 :: v_dual_dot2acc_f32_f16 v64, v89, v97
	v_dual_dot2acc_f32_f16 v33, v91, v104 :: v_dual_dot2acc_f32_f16 v66, v89, v98
	;; [unrolled: 1-line block ×3, first 2 shown]
	v_dot2acc_f32_f16 v59, v92, v102
	v_dot2acc_f32_f16 v25, v90, v99
	;; [unrolled: 1-line block ×3, first 2 shown]
	v_dual_dot2acc_f32_f16 v31, v91, v100 :: v_dual_dot2acc_f32_f16 v54, v92, v97
	v_dot2acc_f32_f16 v53, v92, v98
	v_dot2acc_f32_f16 v36, v92, v99
	ds_load_b128 v[105:108], v86 offset:23552
	v_dot2acc_f32_f16 v22, v89, v100
	v_dot2acc_f32_f16 v62, v90, v97
	;; [unrolled: 1-line block ×7, first 2 shown]
	ds_load_b128 v[97:100], v86 offset:23808
	v_dot2acc_f32_f16 v40, v96, v104
	ds_load_b128 v[93:96], v85 offset:7168
	v_dot2acc_f32_f16 v78, v89, v101
	v_dot2acc_f32_f16 v76, v89, v102
	;; [unrolled: 1-line block ×8, first 2 shown]
	ds_load_b128 v[89:92], v85 offset:7424
	ds_load_b128 v[101:104], v86 offset:24064
	s_waitcnt lgkmcnt(2)
	v_dot2acc_f32_f16 v79, v93, v105
	v_dual_dot2acc_f32_f16 v80, v93, v106 :: v_dual_dot2acc_f32_f16 v39, v96, v99
	v_dot2acc_f32_f16 v51, v93, v107
	v_dual_dot2acc_f32_f16 v52, v93, v108 :: v_dual_dot2acc_f32_f16 v69, v96, v98
	v_dot2acc_f32_f16 v73, v94, v105
	v_dot2acc_f32_f16 v74, v94, v106
	;; [unrolled: 1-line block ×3, first 2 shown]
	s_waitcnt lgkmcnt(1)
	v_dot2acc_f32_f16 v31, v91, v108
	v_dual_dot2acc_f32_f16 v46, v94, v108 :: v_dual_dot2acc_f32_f16 v53, v92, v106
	v_dot2acc_f32_f16 v67, v95, v105
	v_dual_dot2acc_f32_f16 v68, v95, v106 :: v_dual_dot2acc_f32_f16 v25, v90, v107
	;; [unrolled: 2-line block ×3, first 2 shown]
	v_dual_dot2acc_f32_f16 v60, v96, v105 :: v_dual_dot2acc_f32_f16 v27, v90, v99
	v_dot2acc_f32_f16 v61, v96, v106
	v_dual_dot2acc_f32_f16 v34, v96, v107 :: v_dual_dot2acc_f32_f16 v65, v91, v97
	v_dual_dot2acc_f32_f16 v35, v96, v108 :: v_dual_dot2acc_f32_f16 v84, v93, v97
	v_dot2acc_f32_f16 v37, v92, v108
	v_dot2acc_f32_f16 v83, v93, v98
	;; [unrolled: 1-line block ×3, first 2 shown]
	v_dual_dot2acc_f32_f16 v50, v93, v100 :: v_dual_dot2acc_f32_f16 v63, v91, v98
	v_dual_dot2acc_f32_f16 v82, v94, v97 :: v_dual_dot2acc_f32_f16 v33, v91, v100
	v_dot2acc_f32_f16 v81, v94, v98
	v_dot2acc_f32_f16 v47, v94, v99
	v_dual_dot2acc_f32_f16 v48, v94, v100 :: v_dual_dot2acc_f32_f16 v57, v92, v97
	v_dot2acc_f32_f16 v77, v95, v97
	v_dot2acc_f32_f16 v75, v95, v98
	;; [unrolled: 3-line block ×4, first 2 shown]
	v_dot2acc_f32_f16 v22, v89, v108
	v_dot2acc_f32_f16 v62, v90, v105
	;; [unrolled: 1-line block ×3, first 2 shown]
	v_dual_dot2acc_f32_f16 v26, v90, v108 :: v_dual_dot2acc_f32_f16 v55, v91, v105
	v_dot2acc_f32_f16 v56, v91, v106
	v_dot2acc_f32_f16 v30, v91, v107
	;; [unrolled: 1-line block ×4, first 2 shown]
	ds_load_b128 v[105:108], v86 offset:24320
	v_dot2acc_f32_f16 v40, v96, v100
	ds_load_b128 v[93:96], v85 offset:7680
	v_dot2acc_f32_f16 v78, v89, v97
	v_dot2acc_f32_f16 v76, v89, v98
	;; [unrolled: 1-line block ×8, first 2 shown]
	ds_load_b128 v[89:92], v85 offset:7936
	ds_store_2addr_stride64_b32 v0, v6, v4 offset0:32 offset1:34
	ds_store_2addr_stride64_b32 v0, v2, v1 offset0:36 offset1:38
	;; [unrolled: 1-line block ×8, first 2 shown]
	s_waitcnt lgkmcnt(0)
	s_barrier
	ds_load_b128 v[0:3], v85 offset:8192
	ds_load_b128 v[4:7], v86 offset:24576
	;; [unrolled: 1-line block ×4, first 2 shown]
	v_dual_dot2acc_f32_f16 v79, v93, v101 :: v_dual_add_nc_u32 v16, s44, v88
	v_dual_dot2acc_f32_f16 v80, v93, v102 :: v_dual_dot2acc_f32_f16 v39, v96, v107
	v_dot2acc_f32_f16 v51, v93, v103
	v_dual_dot2acc_f32_f16 v52, v93, v104 :: v_dual_dot2acc_f32_f16 v73, v94, v101
	v_dot2acc_f32_f16 v74, v94, v102
	v_dot2acc_f32_f16 v45, v94, v103
	v_dual_dot2acc_f32_f16 v46, v94, v104 :: v_dual_dot2acc_f32_f16 v23, v89, v107
	v_dot2acc_f32_f16 v67, v95, v101
	v_dual_dot2acc_f32_f16 v68, v95, v102 :: v_dual_dot2acc_f32_f16 v37, v92, v104
	v_dot2acc_f32_f16 v41, v95, v103
	v_dual_dot2acc_f32_f16 v44, v95, v104 :: v_dual_dot2acc_f32_f16 v27, v90, v107
	v_dual_dot2acc_f32_f16 v60, v96, v101 :: v_dual_dot2acc_f32_f16 v63, v91, v106
	v_dot2acc_f32_f16 v61, v96, v102
	v_dual_dot2acc_f32_f16 v34, v96, v103 :: v_dual_dot2acc_f32_f16 v65, v91, v105
	v_dual_dot2acc_f32_f16 v35, v96, v104 :: v_dual_dot2acc_f32_f16 v84, v93, v105
	v_dot2acc_f32_f16 v33, v91, v108
	v_dot2acc_f32_f16 v83, v93, v106
	;; [unrolled: 1-line block ×3, first 2 shown]
	v_dual_dot2acc_f32_f16 v50, v93, v108 :: v_dual_dot2acc_f32_f16 v57, v92, v105
	v_dual_dot2acc_f32_f16 v82, v94, v105 :: v_dual_dot2acc_f32_f16 v59, v92, v106
	v_dot2acc_f32_f16 v81, v94, v106
	v_dot2acc_f32_f16 v47, v94, v107
	s_waitcnt lgkmcnt(2)
	v_dual_dot2acc_f32_f16 v48, v94, v108 :: v_dual_dot2acc_f32_f16 v51, v0, v6
	v_dot2acc_f32_f16 v77, v95, v105
	v_dot2acc_f32_f16 v75, v95, v106
	v_dual_dot2acc_f32_f16 v42, v95, v107 :: v_dual_dot2acc_f32_f16 v29, v92, v108
	v_dot2acc_f32_f16 v43, v95, v108
	v_dot2acc_f32_f16 v71, v96, v105
	;; [unrolled: 1-line block ×3, first 2 shown]
	v_dual_dot2acc_f32_f16 v40, v96, v108 :: v_dual_dot2acc_f32_f16 v45, v1, v6
	v_dual_dot2acc_f32_f16 v64, v89, v101 :: v_dual_dot2acc_f32_f16 v79, v0, v4
	;; [unrolled: 1-line block ×7, first 2 shown]
	v_dot2acc_f32_f16 v25, v90, v103
	v_dual_dot2acc_f32_f16 v26, v90, v104 :: v_dual_dot2acc_f32_f16 v55, v91, v101
	v_dot2acc_f32_f16 v56, v91, v102
	v_dot2acc_f32_f16 v30, v91, v103
	v_dual_dot2acc_f32_f16 v31, v91, v104 :: v_dual_dot2acc_f32_f16 v54, v92, v101
	v_dot2acc_f32_f16 v53, v92, v102
	v_dot2acc_f32_f16 v36, v92, v103
	;; [unrolled: 1-line block ×12, first 2 shown]
	ds_load_b128 v[89:92], v86 offset:25088
	v_dot2acc_f32_f16 v52, v0, v7
	v_dot2acc_f32_f16 v46, v1, v7
	;; [unrolled: 1-line block ×6, first 2 shown]
	s_waitcnt lgkmcnt(2)
	v_dot2acc_f32_f16 v84, v0, v8
	v_dot2acc_f32_f16 v83, v0, v9
	;; [unrolled: 1-line block ×7, first 2 shown]
	v_dual_dot2acc_f32_f16 v48, v1, v11 :: v_dual_dot2acc_f32_f16 v77, v2, v8
	v_dot2acc_f32_f16 v75, v2, v9
	v_dot2acc_f32_f16 v42, v2, v10
	;; [unrolled: 1-line block ×7, first 2 shown]
	ds_load_b128 v[0:3], v85 offset:8704
	s_waitcnt lgkmcnt(2)
	v_dot2acc_f32_f16 v64, v12, v4
	v_dot2acc_f32_f16 v66, v12, v5
	v_dot2acc_f32_f16 v18, v12, v6
	v_dot2acc_f32_f16 v22, v12, v7
	v_dot2acc_f32_f16 v62, v13, v4
	v_dot2acc_f32_f16 v58, v13, v5
	v_dot2acc_f32_f16 v25, v13, v6
	v_dual_dot2acc_f32_f16 v26, v13, v7 :: v_dual_dot2acc_f32_f16 v55, v14, v4
	v_dot2acc_f32_f16 v56, v14, v5
	v_dot2acc_f32_f16 v30, v14, v6
	v_dual_dot2acc_f32_f16 v31, v14, v7 :: v_dual_dot2acc_f32_f16 v54, v15, v4
	v_dot2acc_f32_f16 v53, v15, v5
	v_dot2acc_f32_f16 v36, v15, v6
	;; [unrolled: 1-line block ×3, first 2 shown]
	v_dual_dot2acc_f32_f16 v23, v12, v10 :: v_dual_dot2acc_f32_f16 v72, v13, v8
	v_dot2acc_f32_f16 v70, v13, v9
	v_dot2acc_f32_f16 v27, v13, v10
	v_dual_dot2acc_f32_f16 v28, v13, v11 :: v_dual_dot2acc_f32_f16 v65, v14, v8
	v_dot2acc_f32_f16 v63, v14, v9
	v_dot2acc_f32_f16 v32, v14, v10
	;; [unrolled: 1-line block ×5, first 2 shown]
	ds_load_b128 v[4:7], v86 offset:25344
	v_dot2acc_f32_f16 v78, v12, v8
	v_dot2acc_f32_f16 v76, v12, v9
	;; [unrolled: 1-line block ×5, first 2 shown]
	ds_load_b128 v[8:11], v85 offset:8960
	s_waitcnt lgkmcnt(2)
	v_dot2acc_f32_f16 v79, v0, v89
	v_dot2acc_f32_f16 v80, v0, v90
	;; [unrolled: 1-line block ×9, first 2 shown]
	ds_load_b128 v[12:15], v86 offset:25600
	v_dot2acc_f32_f16 v52, v0, v92
	v_dot2acc_f32_f16 v74, v1, v90
	;; [unrolled: 1-line block ×7, first 2 shown]
	s_waitcnt lgkmcnt(2)
	v_dot2acc_f32_f16 v84, v0, v4
	v_dot2acc_f32_f16 v83, v0, v5
	;; [unrolled: 1-line block ×7, first 2 shown]
	v_dual_dot2acc_f32_f16 v48, v1, v7 :: v_dual_dot2acc_f32_f16 v77, v2, v4
	v_dot2acc_f32_f16 v75, v2, v5
	v_dot2acc_f32_f16 v42, v2, v6
	;; [unrolled: 1-line block ×7, first 2 shown]
	ds_load_b128 v[0:3], v85 offset:9216
	s_waitcnt lgkmcnt(2)
	v_dot2acc_f32_f16 v64, v8, v89
	v_dot2acc_f32_f16 v66, v8, v90
	;; [unrolled: 1-line block ×7, first 2 shown]
	v_dual_dot2acc_f32_f16 v26, v9, v92 :: v_dual_dot2acc_f32_f16 v55, v10, v89
	v_dot2acc_f32_f16 v56, v10, v90
	v_dot2acc_f32_f16 v30, v10, v91
	v_dual_dot2acc_f32_f16 v31, v10, v92 :: v_dual_dot2acc_f32_f16 v54, v11, v89
	v_dot2acc_f32_f16 v53, v11, v90
	v_dot2acc_f32_f16 v36, v11, v91
	;; [unrolled: 3-line block ×3, first 2 shown]
	v_dot2acc_f32_f16 v72, v9, v4
	v_dot2acc_f32_f16 v70, v9, v5
	;; [unrolled: 1-line block ×3, first 2 shown]
	v_dual_dot2acc_f32_f16 v28, v9, v7 :: v_dual_dot2acc_f32_f16 v65, v10, v4
	v_dot2acc_f32_f16 v63, v10, v5
	v_dot2acc_f32_f16 v33, v10, v7
	;; [unrolled: 1-line block ×4, first 2 shown]
	ds_load_b128 v[89:92], v86 offset:25856
	v_dot2acc_f32_f16 v78, v8, v4
	v_dot2acc_f32_f16 v32, v10, v6
	;; [unrolled: 1-line block ×4, first 2 shown]
	ds_load_b128 v[4:7], v85 offset:9472
	s_waitcnt lgkmcnt(2)
	v_dot2acc_f32_f16 v79, v0, v12
	v_dot2acc_f32_f16 v51, v0, v14
	;; [unrolled: 1-line block ×8, first 2 shown]
	ds_load_b128 v[8:11], v86 offset:26112
	v_dot2acc_f32_f16 v80, v0, v13
	v_dot2acc_f32_f16 v52, v0, v15
	;; [unrolled: 1-line block ×8, first 2 shown]
	s_waitcnt lgkmcnt(2)
	v_dot2acc_f32_f16 v84, v0, v89
	v_dot2acc_f32_f16 v83, v0, v90
	;; [unrolled: 1-line block ×7, first 2 shown]
	v_dual_dot2acc_f32_f16 v48, v1, v92 :: v_dual_dot2acc_f32_f16 v77, v2, v89
	v_dot2acc_f32_f16 v75, v2, v90
	v_dot2acc_f32_f16 v42, v2, v91
	;; [unrolled: 1-line block ×7, first 2 shown]
	ds_load_b128 v[0:3], v85 offset:9728
	s_waitcnt lgkmcnt(2)
	v_dot2acc_f32_f16 v64, v4, v12
	v_dot2acc_f32_f16 v66, v4, v13
	;; [unrolled: 1-line block ×7, first 2 shown]
	v_dual_dot2acc_f32_f16 v26, v5, v15 :: v_dual_dot2acc_f32_f16 v55, v6, v12
	v_dot2acc_f32_f16 v56, v6, v13
	v_dot2acc_f32_f16 v30, v6, v14
	v_dual_dot2acc_f32_f16 v31, v6, v15 :: v_dual_dot2acc_f32_f16 v54, v7, v12
	v_dot2acc_f32_f16 v53, v7, v13
	v_dot2acc_f32_f16 v36, v7, v14
	;; [unrolled: 3-line block ×3, first 2 shown]
	v_dot2acc_f32_f16 v72, v5, v89
	v_dot2acc_f32_f16 v27, v5, v91
	;; [unrolled: 1-line block ×7, first 2 shown]
	ds_load_b128 v[12:15], v86 offset:26368
	v_dot2acc_f32_f16 v78, v4, v89
	v_dot2acc_f32_f16 v70, v5, v90
	;; [unrolled: 1-line block ×6, first 2 shown]
	ds_load_b128 v[4:7], v85 offset:9984
	s_waitcnt lgkmcnt(2)
	v_dot2acc_f32_f16 v79, v0, v8
	v_dot2acc_f32_f16 v51, v0, v10
	;; [unrolled: 1-line block ×8, first 2 shown]
	ds_load_b128 v[89:92], v86 offset:26624
	v_dot2acc_f32_f16 v80, v0, v9
	v_dot2acc_f32_f16 v52, v0, v11
	v_dot2acc_f32_f16 v74, v1, v9
	v_dot2acc_f32_f16 v46, v1, v11
	v_dot2acc_f32_f16 v68, v2, v9
	v_dot2acc_f32_f16 v44, v2, v11
	v_dot2acc_f32_f16 v60, v3, v8
	v_dot2acc_f32_f16 v34, v3, v10
	s_waitcnt lgkmcnt(2)
	v_dot2acc_f32_f16 v84, v0, v12
	v_dot2acc_f32_f16 v83, v0, v13
	;; [unrolled: 1-line block ×7, first 2 shown]
	v_dual_dot2acc_f32_f16 v48, v1, v15 :: v_dual_dot2acc_f32_f16 v77, v2, v12
	v_dot2acc_f32_f16 v75, v2, v13
	v_dot2acc_f32_f16 v42, v2, v14
	;; [unrolled: 1-line block ×7, first 2 shown]
	ds_load_b128 v[0:3], v85 offset:10240
	s_waitcnt lgkmcnt(2)
	v_dot2acc_f32_f16 v64, v4, v8
	v_dot2acc_f32_f16 v66, v4, v9
	v_dot2acc_f32_f16 v18, v4, v10
	v_dot2acc_f32_f16 v22, v4, v11
	v_dot2acc_f32_f16 v62, v5, v8
	v_dot2acc_f32_f16 v58, v5, v9
	v_dot2acc_f32_f16 v25, v5, v10
	v_dual_dot2acc_f32_f16 v26, v5, v11 :: v_dual_dot2acc_f32_f16 v55, v6, v8
	v_dot2acc_f32_f16 v56, v6, v9
	v_dot2acc_f32_f16 v30, v6, v10
	v_dual_dot2acc_f32_f16 v31, v6, v11 :: v_dual_dot2acc_f32_f16 v54, v7, v8
	v_dot2acc_f32_f16 v53, v7, v9
	v_dot2acc_f32_f16 v36, v7, v10
	;; [unrolled: 1-line block ×3, first 2 shown]
	ds_load_b128 v[8:11], v86 offset:26880
	v_dot2acc_f32_f16 v78, v4, v12
	v_dot2acc_f32_f16 v76, v4, v13
	v_dual_dot2acc_f32_f16 v23, v4, v14 :: v_dual_dot2acc_f32_f16 v72, v5, v12
	v_dual_dot2acc_f32_f16 v27, v5, v14 :: v_dual_dot2acc_f32_f16 v24, v4, v15
	;; [unrolled: 1-line block ×4, first 2 shown]
	v_dot2acc_f32_f16 v33, v6, v15
	v_dual_dot2acc_f32_f16 v57, v7, v12 :: v_dual_dot2acc_f32_f16 v32, v6, v14
	v_dot2acc_f32_f16 v59, v7, v13
	v_dot2acc_f32_f16 v38, v7, v14
	;; [unrolled: 1-line block ×3, first 2 shown]
	ds_load_b128 v[4:7], v85 offset:10496
	s_waitcnt lgkmcnt(2)
	v_dot2acc_f32_f16 v79, v0, v89
	v_dot2acc_f32_f16 v51, v0, v91
	;; [unrolled: 1-line block ×8, first 2 shown]
	ds_load_b128 v[12:15], v86 offset:27136
	v_dot2acc_f32_f16 v80, v0, v90
	v_dot2acc_f32_f16 v52, v0, v92
	;; [unrolled: 1-line block ×8, first 2 shown]
	s_waitcnt lgkmcnt(2)
	v_dot2acc_f32_f16 v84, v0, v8
	v_dot2acc_f32_f16 v83, v0, v9
	v_dual_dot2acc_f32_f16 v49, v0, v10 :: v_dual_dot2acc_f32_f16 v82, v1, v8
	v_dual_dot2acc_f32_f16 v81, v1, v9 :: v_dual_dot2acc_f32_f16 v50, v0, v11
	v_dot2acc_f32_f16 v47, v1, v10
	v_dual_dot2acc_f32_f16 v48, v1, v11 :: v_dual_dot2acc_f32_f16 v77, v2, v8
	v_dot2acc_f32_f16 v75, v2, v9
	v_dot2acc_f32_f16 v42, v2, v10
	;; [unrolled: 1-line block ×7, first 2 shown]
	ds_load_b128 v[0:3], v85 offset:10752
	s_waitcnt lgkmcnt(2)
	v_dot2acc_f32_f16 v64, v4, v89
	v_dot2acc_f32_f16 v66, v4, v90
	;; [unrolled: 1-line block ×13, first 2 shown]
	v_dual_dot2acc_f32_f16 v56, v6, v90 :: v_dual_dot2acc_f32_f16 v37, v7, v92
	v_dot2acc_f32_f16 v78, v4, v8
	v_dot2acc_f32_f16 v23, v4, v10
	;; [unrolled: 1-line block ×3, first 2 shown]
	v_dual_dot2acc_f32_f16 v65, v6, v8 :: v_dual_dot2acc_f32_f16 v36, v7, v91
	v_dot2acc_f32_f16 v63, v6, v9
	v_dot2acc_f32_f16 v33, v6, v11
	;; [unrolled: 1-line block ×4, first 2 shown]
	ds_load_b128 v[89:92], v86 offset:27392
	v_dot2acc_f32_f16 v76, v4, v9
	v_dot2acc_f32_f16 v24, v4, v11
	;; [unrolled: 1-line block ×5, first 2 shown]
	v_dual_dot2acc_f32_f16 v29, v7, v11 :: v_dual_dot2acc_f32_f16 v32, v6, v10
	s_waitcnt lgkmcnt(1)
	v_dual_dot2acc_f32_f16 v79, v0, v12 :: v_dual_dot2acc_f32_f16 v38, v7, v10
	ds_load_b128 v[4:7], v85 offset:11008
	v_dot2acc_f32_f16 v51, v0, v14
	v_dot2acc_f32_f16 v73, v1, v12
	;; [unrolled: 1-line block ×7, first 2 shown]
	ds_load_b128 v[8:11], v86 offset:27648
	v_dot2acc_f32_f16 v80, v0, v13
	v_dot2acc_f32_f16 v52, v0, v15
	;; [unrolled: 1-line block ×7, first 2 shown]
	s_waitcnt lgkmcnt(2)
	v_dot2acc_f32_f16 v84, v0, v89
	v_dot2acc_f32_f16 v83, v0, v90
	v_dual_dot2acc_f32_f16 v34, v3, v14 :: v_dual_dot2acc_f32_f16 v49, v0, v91
	v_dot2acc_f32_f16 v82, v1, v89
	v_dual_dot2acc_f32_f16 v81, v1, v90 :: v_dual_dot2acc_f32_f16 v50, v0, v92
	v_dot2acc_f32_f16 v47, v1, v91
	v_dot2acc_f32_f16 v77, v2, v89
	v_dual_dot2acc_f32_f16 v75, v2, v90 :: v_dual_dot2acc_f32_f16 v48, v1, v92
	v_dot2acc_f32_f16 v42, v2, v91
	v_dot2acc_f32_f16 v43, v2, v92
	;; [unrolled: 1-line block ×6, first 2 shown]
	ds_load_b128 v[0:3], v85 offset:11264
	s_waitcnt lgkmcnt(2)
	v_dot2acc_f32_f16 v64, v4, v12
	v_dot2acc_f32_f16 v66, v4, v13
	;; [unrolled: 1-line block ×3, first 2 shown]
	v_dual_dot2acc_f32_f16 v22, v4, v15 :: v_dual_dot2acc_f32_f16 v25, v5, v14
	v_dual_dot2acc_f32_f16 v55, v6, v12 :: v_dual_dot2acc_f32_f16 v58, v5, v13
	;; [unrolled: 1-line block ×7, first 2 shown]
	v_dot2acc_f32_f16 v36, v7, v14
	ds_load_b128 v[12:15], v86 offset:27904
	v_dual_dot2acc_f32_f16 v27, v5, v91 :: v_dual_dot2acc_f32_f16 v78, v4, v89
	v_dot2acc_f32_f16 v63, v6, v90
	v_dual_dot2acc_f32_f16 v76, v4, v90 :: v_dual_dot2acc_f32_f16 v33, v6, v92
	v_dual_dot2acc_f32_f16 v24, v4, v92 :: v_dual_dot2acc_f32_f16 v57, v7, v89
	;; [unrolled: 1-line block ×4, first 2 shown]
	v_dot2acc_f32_f16 v28, v5, v92
	s_waitcnt lgkmcnt(1)
	v_dual_dot2acc_f32_f16 v79, v0, v8 :: v_dual_dot2acc_f32_f16 v32, v6, v91
	v_dot2acc_f32_f16 v51, v0, v10
	v_dual_dot2acc_f32_f16 v73, v1, v8 :: v_dual_dot2acc_f32_f16 v38, v7, v91
	ds_load_b128 v[4:7], v85 offset:11520
	v_dot2acc_f32_f16 v45, v1, v10
	v_dot2acc_f32_f16 v67, v2, v8
	;; [unrolled: 1-line block ×5, first 2 shown]
	ds_load_b128 v[89:92], v86 offset:28160
	v_dot2acc_f32_f16 v80, v0, v9
	v_dot2acc_f32_f16 v52, v0, v11
	;; [unrolled: 1-line block ×5, first 2 shown]
	s_waitcnt lgkmcnt(2)
	v_dual_dot2acc_f32_f16 v60, v3, v8 :: v_dual_dot2acc_f32_f16 v83, v0, v13
	v_dual_dot2acc_f32_f16 v44, v2, v11 :: v_dual_dot2acc_f32_f16 v49, v0, v14
	v_dot2acc_f32_f16 v82, v1, v12
	v_dual_dot2acc_f32_f16 v81, v1, v13 :: v_dual_dot2acc_f32_f16 v34, v3, v10
	v_dual_dot2acc_f32_f16 v47, v1, v14 :: v_dual_dot2acc_f32_f16 v84, v0, v12
	;; [unrolled: 1-line block ×4, first 2 shown]
	v_dot2acc_f32_f16 v43, v2, v15
	v_dual_dot2acc_f32_f16 v71, v3, v12 :: v_dual_dot2acc_f32_f16 v42, v2, v14
	v_dot2acc_f32_f16 v69, v3, v13
	v_dot2acc_f32_f16 v39, v3, v14
	;; [unrolled: 1-line block ×3, first 2 shown]
	ds_load_b128 v[0:3], v85 offset:11776
	s_waitcnt lgkmcnt(2)
	v_dot2acc_f32_f16 v64, v4, v8
	v_dot2acc_f32_f16 v66, v4, v9
	;; [unrolled: 1-line block ×7, first 2 shown]
	v_dual_dot2acc_f32_f16 v22, v4, v11 :: v_dual_dot2acc_f32_f16 v53, v7, v9
	v_dual_dot2acc_f32_f16 v62, v5, v8 :: v_dual_dot2acc_f32_f16 v37, v7, v11
	;; [unrolled: 1-line block ×3, first 2 shown]
	v_dot2acc_f32_f16 v26, v5, v11
	v_dual_dot2acc_f32_f16 v27, v5, v14 :: v_dual_dot2acc_f32_f16 v54, v7, v8
	v_dual_dot2acc_f32_f16 v65, v6, v12 :: v_dual_dot2acc_f32_f16 v36, v7, v10
	v_dot2acc_f32_f16 v63, v6, v13
	v_dot2acc_f32_f16 v33, v6, v15
	v_dual_dot2acc_f32_f16 v57, v7, v12 :: v_dual_dot2acc_f32_f16 v30, v6, v10
	v_dot2acc_f32_f16 v59, v7, v13
	ds_load_b128 v[8:11], v86 offset:28416
	v_dot2acc_f32_f16 v78, v4, v12
	v_dot2acc_f32_f16 v76, v4, v13
	;; [unrolled: 1-line block ×3, first 2 shown]
	v_dual_dot2acc_f32_f16 v29, v7, v15 :: v_dual_dot2acc_f32_f16 v72, v5, v12
	s_waitcnt lgkmcnt(1)
	v_dot2acc_f32_f16 v79, v0, v89
	v_dual_dot2acc_f32_f16 v70, v5, v13 :: v_dual_dot2acc_f32_f16 v51, v0, v91
	v_dot2acc_f32_f16 v28, v5, v15
	v_dual_dot2acc_f32_f16 v73, v1, v89 :: v_dual_dot2acc_f32_f16 v32, v6, v14
	v_dual_dot2acc_f32_f16 v67, v2, v89 :: v_dual_dot2acc_f32_f16 v38, v7, v14
	ds_load_b128 v[4:7], v85 offset:12032
	v_dot2acc_f32_f16 v45, v1, v91
	v_dot2acc_f32_f16 v41, v2, v91
	;; [unrolled: 1-line block ×4, first 2 shown]
	ds_load_b128 v[12:15], v86 offset:28672
	v_dot2acc_f32_f16 v80, v0, v90
	v_dot2acc_f32_f16 v52, v0, v92
	;; [unrolled: 1-line block ×3, first 2 shown]
	s_waitcnt lgkmcnt(2)
	v_dual_dot2acc_f32_f16 v46, v1, v92 :: v_dual_dot2acc_f32_f16 v83, v0, v9
	v_dual_dot2acc_f32_f16 v44, v2, v92 :: v_dual_dot2acc_f32_f16 v49, v0, v10
	;; [unrolled: 1-line block ×4, first 2 shown]
	v_dot2acc_f32_f16 v84, v0, v8
	v_dual_dot2acc_f32_f16 v77, v2, v8 :: v_dual_dot2acc_f32_f16 v34, v3, v91
	v_dual_dot2acc_f32_f16 v75, v2, v9 :: v_dual_dot2acc_f32_f16 v50, v0, v11
	v_dot2acc_f32_f16 v43, v2, v11
	v_dual_dot2acc_f32_f16 v48, v1, v11 :: v_dual_dot2acc_f32_f16 v71, v3, v8
	v_dual_dot2acc_f32_f16 v82, v1, v8 :: v_dual_dot2acc_f32_f16 v69, v3, v9
	v_dot2acc_f32_f16 v39, v3, v10
	v_dot2acc_f32_f16 v42, v2, v10
	;; [unrolled: 1-line block ×3, first 2 shown]
	ds_load_b128 v[0:3], v85 offset:12288
	s_waitcnt lgkmcnt(2)
	v_dual_dot2acc_f32_f16 v64, v4, v89 :: v_dual_dot2acc_f32_f16 v25, v5, v91
	v_dual_dot2acc_f32_f16 v55, v6, v89 :: v_dual_dot2acc_f32_f16 v66, v4, v90
	v_dot2acc_f32_f16 v31, v6, v92
	v_dual_dot2acc_f32_f16 v22, v4, v92 :: v_dual_dot2acc_f32_f16 v53, v7, v90
	v_dual_dot2acc_f32_f16 v18, v4, v91 :: v_dual_dot2acc_f32_f16 v37, v7, v92
	;; [unrolled: 1-line block ×3, first 2 shown]
	v_dot2acc_f32_f16 v58, v5, v90
	v_dot2acc_f32_f16 v27, v5, v10
	;; [unrolled: 1-line block ×4, first 2 shown]
	v_dual_dot2acc_f32_f16 v26, v5, v92 :: v_dual_dot2acc_f32_f16 v63, v6, v9
	v_dual_dot2acc_f32_f16 v54, v7, v89 :: v_dual_dot2acc_f32_f16 v33, v6, v11
	v_dot2acc_f32_f16 v36, v7, v91
	v_dual_dot2acc_f32_f16 v57, v7, v8 :: v_dual_dot2acc_f32_f16 v30, v6, v91
	ds_load_b128 v[89:92], v86 offset:28928
	v_dual_dot2acc_f32_f16 v59, v7, v9 :: v_dual_dot2acc_f32_f16 v78, v4, v8
	v_dual_dot2acc_f32_f16 v29, v7, v11 :: v_dual_dot2acc_f32_f16 v76, v4, v9
	s_waitcnt lgkmcnt(1)
	v_dual_dot2acc_f32_f16 v79, v0, v12 :: v_dual_dot2acc_f32_f16 v70, v5, v9
	v_dual_dot2acc_f32_f16 v51, v0, v14 :: v_dual_dot2acc_f32_f16 v72, v5, v8
	;; [unrolled: 1-line block ×3, first 2 shown]
	v_dot2acc_f32_f16 v45, v1, v14
	v_dual_dot2acc_f32_f16 v67, v2, v12 :: v_dual_dot2acc_f32_f16 v28, v5, v11
	v_dot2acc_f32_f16 v38, v7, v10
	v_dot2acc_f32_f16 v41, v2, v14
	v_dual_dot2acc_f32_f16 v61, v3, v13 :: v_dual_dot2acc_f32_f16 v32, v6, v10
	ds_load_b128 v[4:7], v85 offset:12544
	v_dot2acc_f32_f16 v35, v3, v15
	ds_load_b128 v[8:11], v86 offset:29184
	v_dot2acc_f32_f16 v80, v0, v13
	v_dot2acc_f32_f16 v52, v0, v15
	s_waitcnt lgkmcnt(2)
	v_dual_dot2acc_f32_f16 v74, v1, v13 :: v_dual_dot2acc_f32_f16 v83, v0, v90
	v_dot2acc_f32_f16 v49, v0, v91
	v_dot2acc_f32_f16 v46, v1, v15
	v_dual_dot2acc_f32_f16 v81, v1, v90 :: v_dual_dot2acc_f32_f16 v44, v2, v15
	v_dual_dot2acc_f32_f16 v47, v1, v91 :: v_dual_dot2acc_f32_f16 v68, v2, v13
	;; [unrolled: 1-line block ×5, first 2 shown]
	v_dot2acc_f32_f16 v71, v3, v89
	v_dual_dot2acc_f32_f16 v82, v1, v89 :: v_dual_dot2acc_f32_f16 v69, v3, v90
	v_dual_dot2acc_f32_f16 v50, v0, v92 :: v_dual_dot2acc_f32_f16 v39, v3, v91
	v_dot2acc_f32_f16 v48, v1, v92
	v_dot2acc_f32_f16 v42, v2, v91
	;; [unrolled: 1-line block ×3, first 2 shown]
	ds_load_b128 v[0:3], v85 offset:12800
	s_waitcnt lgkmcnt(2)
	v_dot2acc_f32_f16 v25, v5, v14
	v_dual_dot2acc_f32_f16 v55, v6, v12 :: v_dual_dot2acc_f32_f16 v66, v4, v13
	v_dot2acc_f32_f16 v31, v6, v15
	v_dual_dot2acc_f32_f16 v53, v7, v13 :: v_dual_dot2acc_f32_f16 v64, v4, v12
	v_dual_dot2acc_f32_f16 v37, v7, v15 :: v_dual_dot2acc_f32_f16 v18, v4, v14
	;; [unrolled: 1-line block ×3, first 2 shown]
	v_dot2acc_f32_f16 v27, v5, v91
	v_dual_dot2acc_f32_f16 v22, v4, v15 :: v_dual_dot2acc_f32_f16 v65, v6, v89
	v_dual_dot2acc_f32_f16 v58, v5, v13 :: v_dual_dot2acc_f32_f16 v63, v6, v90
	;; [unrolled: 1-line block ×3, first 2 shown]
	v_dot2acc_f32_f16 v54, v7, v12
	v_dot2acc_f32_f16 v57, v7, v89
	v_dual_dot2acc_f32_f16 v56, v6, v13 :: v_dual_dot2acc_f32_f16 v59, v7, v90
	s_waitcnt lgkmcnt(0)
	v_dual_dot2acc_f32_f16 v30, v6, v14 :: v_dual_dot2acc_f32_f16 v79, v0, v8
	v_dot2acc_f32_f16 v36, v7, v14
	ds_load_b128 v[12:15], v86 offset:29440
	v_dot2acc_f32_f16 v38, v7, v91
	v_dual_dot2acc_f32_f16 v29, v7, v92 :: v_dual_dot2acc_f32_f16 v78, v4, v89
	v_dual_dot2acc_f32_f16 v51, v0, v10 :: v_dual_dot2acc_f32_f16 v72, v5, v89
	v_dual_dot2acc_f32_f16 v73, v1, v8 :: v_dual_dot2acc_f32_f16 v76, v4, v90
	v_dual_dot2acc_f32_f16 v45, v1, v10 :: v_dual_dot2acc_f32_f16 v24, v4, v92
	v_dual_dot2acc_f32_f16 v67, v2, v8 :: v_dual_dot2acc_f32_f16 v70, v5, v90
	v_dual_dot2acc_f32_f16 v41, v2, v10 :: v_dual_dot2acc_f32_f16 v28, v5, v92
	v_dual_dot2acc_f32_f16 v61, v3, v9 :: v_dual_dot2acc_f32_f16 v32, v6, v91
	ds_load_b128 v[4:7], v85 offset:13056
	v_dot2acc_f32_f16 v35, v3, v11
	ds_load_b128 v[89:92], v86 offset:29696
	v_dot2acc_f32_f16 v80, v0, v9
	s_waitcnt lgkmcnt(2)
	v_dot2acc_f32_f16 v83, v0, v13
	v_dual_dot2acc_f32_f16 v49, v0, v14 :: v_dual_dot2acc_f32_f16 v74, v1, v9
	v_dual_dot2acc_f32_f16 v81, v1, v13 :: v_dual_dot2acc_f32_f16 v52, v0, v11
	;; [unrolled: 1-line block ×9, first 2 shown]
	ds_load_b128 v[93:96], v85 offset:13568
	v_dot2acc_f32_f16 v82, v1, v12
	v_dot2acc_f32_f16 v48, v1, v15
	;; [unrolled: 1-line block ×4, first 2 shown]
	ds_load_b128 v[0:3], v85 offset:13312
	s_waitcnt lgkmcnt(3)
	v_dot2acc_f32_f16 v25, v5, v10
	v_dot2acc_f32_f16 v55, v6, v8
	v_dot2acc_f32_f16 v31, v6, v11
	v_dot2acc_f32_f16 v53, v7, v9
	v_dot2acc_f32_f16 v37, v7, v11
	v_dot2acc_f32_f16 v23, v4, v14
	v_dual_dot2acc_f32_f16 v64, v4, v8 :: v_dual_dot2acc_f32_f16 v27, v5, v14
	v_dual_dot2acc_f32_f16 v66, v4, v9 :: v_dual_dot2acc_f32_f16 v65, v6, v12
	v_dot2acc_f32_f16 v18, v4, v10
	v_dot2acc_f32_f16 v58, v5, v9
	v_dual_dot2acc_f32_f16 v63, v6, v13 :: v_dual_dot2acc_f32_f16 v22, v4, v11
	v_dual_dot2acc_f32_f16 v33, v6, v15 :: v_dual_dot2acc_f32_f16 v62, v5, v8
	;; [unrolled: 1-line block ×5, first 2 shown]
	s_waitcnt lgkmcnt(0)
	v_dual_dot2acc_f32_f16 v79, v0, v89 :: v_dual_dot2acc_f32_f16 v36, v7, v10
	v_dual_dot2acc_f32_f16 v51, v0, v91 :: v_dual_dot2acc_f32_f16 v54, v7, v8
	ds_load_b128 v[8:11], v86 offset:29952
	v_mul_lo_u32 v19, v16, s14
	v_dual_dot2acc_f32_f16 v38, v7, v14 :: v_dual_dot2acc_f32_f16 v73, v1, v89
	v_dual_dot2acc_f32_f16 v76, v4, v13 :: v_dual_dot2acc_f32_f16 v45, v1, v91
	;; [unrolled: 1-line block ×3, first 2 shown]
	v_dot2acc_f32_f16 v24, v4, v15
	v_dual_dot2acc_f32_f16 v41, v2, v91 :: v_dual_dot2acc_f32_f16 v72, v5, v12
	v_dual_dot2acc_f32_f16 v61, v3, v90 :: v_dual_dot2acc_f32_f16 v28, v5, v15
	;; [unrolled: 1-line block ×3, first 2 shown]
	v_dot2acc_f32_f16 v70, v5, v13
	ds_load_b128 v[12:15], v86 offset:30208
	ds_load_b128 v[4:7], v86 offset:30464
	v_mad_u64_u32 v[20:21], null, v17, s15, v[19:20]
	s_waitcnt lgkmcnt(2)
	v_dot2acc_f32_f16 v83, v0, v9
	v_dual_dot2acc_f32_f16 v49, v0, v10 :: v_dual_dot2acc_f32_f16 v82, v1, v8
	v_dot2acc_f32_f16 v81, v1, v9
	v_dual_dot2acc_f32_f16 v47, v1, v10 :: v_dual_dot2acc_f32_f16 v52, v0, v92
	v_dual_dot2acc_f32_f16 v48, v1, v11 :: v_dual_dot2acc_f32_f16 v77, v2, v8
	v_dot2acc_f32_f16 v80, v0, v90
	v_dual_dot2acc_f32_f16 v46, v1, v92 :: v_dual_dot2acc_f32_f16 v75, v2, v9
	v_dot2acc_f32_f16 v74, v1, v90
	v_dot2acc_f32_f16 v42, v2, v10
	v_dual_dot2acc_f32_f16 v43, v2, v11 :: v_dual_dot2acc_f32_f16 v60, v3, v89
	v_dot2acc_f32_f16 v34, v3, v91
	v_dual_dot2acc_f32_f16 v71, v3, v8 :: v_dual_dot2acc_f32_f16 v68, v2, v90
	v_dual_dot2acc_f32_f16 v69, v3, v9 :: v_dual_dot2acc_f32_f16 v44, v2, v92
	;; [unrolled: 1-line block ×3, first 2 shown]
	v_dot2acc_f32_f16 v50, v0, v11
	v_dot2acc_f32_f16 v40, v3, v11
	ds_load_b128 v[0:3], v85 offset:13824
	v_dual_dot2acc_f32_f16 v29, v96, v11 :: v_dual_dot2acc_f32_f16 v56, v95, v90
	v_add_nc_u32_e32 v21, s14, v20
	v_dot2acc_f32_f16 v23, v93, v10
	v_dot2acc_f32_f16 v27, v94, v10
	;; [unrolled: 1-line block ×6, first 2 shown]
	v_dual_dot2acc_f32_f16 v59, v96, v9 :: v_dual_dot2acc_f32_f16 v30, v95, v91
	v_lshlrev_b32_e32 v19, 1, v21
	v_add_lshl_u32 v87, v21, s0, 1
	v_add_nc_u32_e32 v21, s14, v21
	v_dot2acc_f32_f16 v25, v94, v91
	v_dot2acc_f32_f16 v55, v95, v89
	;; [unrolled: 1-line block ×5, first 2 shown]
	s_waitcnt lgkmcnt(0)
	v_dot2acc_f32_f16 v79, v0, v12
	v_dot2acc_f32_f16 v51, v0, v14
	;; [unrolled: 1-line block ×6, first 2 shown]
	v_dual_dot2acc_f32_f16 v67, v2, v12 :: v_dual_dot2acc_f32_f16 v24, v93, v11
	v_dot2acc_f32_f16 v41, v2, v14
	v_dual_dot2acc_f32_f16 v72, v94, v8 :: v_dual_dot2acc_f32_f16 v61, v3, v13
	v_dot2acc_f32_f16 v28, v94, v11
	v_dual_dot2acc_f32_f16 v35, v3, v15 :: v_dual_dot2acc_f32_f16 v70, v94, v9
	v_dual_dot2acc_f32_f16 v83, v0, v5 :: v_dual_dot2acc_f32_f16 v32, v95, v10
	;; [unrolled: 1-line block ×3, first 2 shown]
	ds_load_b128 v[8:11], v85 offset:14080
	v_dual_dot2acc_f32_f16 v49, v0, v6 :: v_dual_dot2acc_f32_f16 v46, v1, v15
	v_dot2acc_f32_f16 v82, v1, v4
	v_dual_dot2acc_f32_f16 v47, v1, v6 :: v_dual_dot2acc_f32_f16 v52, v0, v15
	v_dual_dot2acc_f32_f16 v77, v2, v4 :: v_dual_dot2acc_f32_f16 v80, v0, v13
	;; [unrolled: 1-line block ×3, first 2 shown]
	v_dot2acc_f32_f16 v74, v1, v13
	v_dot2acc_f32_f16 v42, v2, v6
	v_dual_dot2acc_f32_f16 v43, v2, v7 :: v_dual_dot2acc_f32_f16 v60, v3, v12
	v_dual_dot2acc_f32_f16 v71, v3, v4 :: v_dual_dot2acc_f32_f16 v68, v2, v13
	;; [unrolled: 1-line block ×4, first 2 shown]
	v_dot2acc_f32_f16 v84, v0, v4
	v_dot2acc_f32_f16 v48, v1, v7
	;; [unrolled: 1-line block ×3, first 2 shown]
	ds_load_b128 v[0:3], v85 offset:14336
	s_waitcnt lgkmcnt(1)
	v_dual_dot2acc_f32_f16 v64, v93, v89 :: v_dual_dot2acc_f32_f16 v31, v10, v15
	v_dual_dot2acc_f32_f16 v66, v93, v90 :: v_dual_dot2acc_f32_f16 v65, v10, v4
	;; [unrolled: 1-line block ×8, first 2 shown]
	v_dot2acc_f32_f16 v36, v96, v91
	v_dot2acc_f32_f16 v64, v8, v12
	;; [unrolled: 1-line block ×5, first 2 shown]
	v_dual_dot2acc_f32_f16 v26, v9, v15 :: v_dual_dot2acc_f32_f16 v55, v10, v12
	v_dot2acc_f32_f16 v66, v8, v13
	v_dot2acc_f32_f16 v56, v10, v13
	;; [unrolled: 1-line block ×4, first 2 shown]
	v_dual_dot2acc_f32_f16 v53, v11, v13 :: v_dual_dot2acc_f32_f16 v18, v8, v14
	v_dot2acc_f32_f16 v36, v11, v14
	v_dual_dot2acc_f32_f16 v37, v11, v15 :: v_dual_dot2acc_f32_f16 v62, v9, v12
	ds_load_b128 v[12:15], v86 offset:30720
	v_dot2acc_f32_f16 v23, v8, v6
	s_mov_b32 s15, s27
	s_waitcnt lgkmcnt(0)
	v_dot2acc_f32_f16 v79, v0, v12
	v_dot2acc_f32_f16 v76, v8, v5
	v_dot2acc_f32_f16 v51, v0, v14
	v_dot2acc_f32_f16 v78, v8, v4
	v_dual_dot2acc_f32_f16 v67, v2, v12 :: v_dual_dot2acc_f32_f16 v24, v8, v7
	v_lshlrev_b32_e32 v8, 1, v20
	v_dot2acc_f32_f16 v28, v9, v7
	v_dual_dot2acc_f32_f16 v73, v1, v12 :: v_dual_dot2acc_f32_f16 v32, v10, v6
	v_dot2acc_f32_f16 v45, v1, v14
	buffer_load_b64 v[91:92], v8, s[16:19], 0 offen
	v_add_lshl_u32 v8, v20, s0, 1
	v_dual_dot2acc_f32_f16 v72, v9, v4 :: v_dual_dot2acc_f32_f16 v61, v3, v13
	v_dot2acc_f32_f16 v38, v11, v6
	v_dot2acc_f32_f16 v35, v3, v15
	buffer_load_b64 v[93:94], v8, s[16:19], 0 offen
	v_dot2acc_f32_f16 v70, v9, v5
	ds_load_b128 v[4:7], v86 offset:30976
	ds_load_b128 v[8:11], v85 offset:14592
	s_clause 0x1
	buffer_load_b64 v[19:20], v19, s[16:19], 0 offen
	buffer_load_b64 v[95:96], v87, s[16:19], 0 offen
	v_lshlrev_b32_e32 v87, 1, v21
	v_dual_dot2acc_f32_f16 v41, v2, v14 :: v_dual_dot2acc_f32_f16 v80, v0, v13
	buffer_load_b64 v[97:98], v87, s[16:19], 0 offen
	s_waitcnt lgkmcnt(1)
	v_dot2acc_f32_f16 v83, v0, v5
	v_dot2acc_f32_f16 v49, v0, v6
	v_dual_dot2acc_f32_f16 v81, v1, v5 :: v_dual_dot2acc_f32_f16 v52, v0, v15
	v_dot2acc_f32_f16 v47, v1, v6
	v_dot2acc_f32_f16 v75, v2, v5
	v_dual_dot2acc_f32_f16 v43, v2, v7 :: v_dual_dot2acc_f32_f16 v84, v0, v4
	v_dual_dot2acc_f32_f16 v69, v3, v5 :: v_dual_dot2acc_f32_f16 v50, v0, v7
	v_add_lshl_u32 v0, v21, s0, 1
	v_add_nc_u32_e32 v21, s14, v21
	s_waitcnt lgkmcnt(0)
	v_dot2acc_f32_f16 v55, v10, v12
	v_dual_dot2acc_f32_f16 v27, v9, v6 :: v_dual_dot2acc_f32_f16 v22, v8, v15
	buffer_load_b64 v[99:100], v0, s[16:19], 0 offen
	v_lshlrev_b32_e32 v87, 1, v21
	v_dot2acc_f32_f16 v39, v3, v6
	v_dual_dot2acc_f32_f16 v25, v9, v14 :: v_dual_dot2acc_f32_f16 v66, v8, v13
	v_dot2acc_f32_f16 v31, v10, v15
	buffer_load_b64 v[101:102], v87, s[16:19], 0 offen
	v_add_lshl_u32 v87, v21, s0, 1
	v_dual_dot2acc_f32_f16 v64, v8, v12 :: v_dual_dot2acc_f32_f16 v53, v11, v13
	v_dot2acc_f32_f16 v18, v8, v14
	v_dot2acc_f32_f16 v23, v8, v6
	buffer_load_b64 v[103:104], v87, s[16:19], 0 offen
	v_mad_u64_u32 v[87:88], null, s14, 61, v[21:22]
	v_dot2acc_f32_f16 v63, v10, v5
	v_dot2acc_f32_f16 v33, v10, v7
	v_dual_dot2acc_f32_f16 v59, v11, v5 :: v_dual_dot2acc_f32_f16 v78, v8, v4
	v_dot2acc_f32_f16 v24, v8, v7
	v_dot2acc_f32_f16 v29, v11, v7
	v_dual_dot2acc_f32_f16 v76, v8, v5 :: v_dual_lshlrev_b32 v21, 1, v87
	v_add_lshl_u32 v8, v87, s0, 1
	v_dot2acc_f32_f16 v74, v1, v13
	v_dot2acc_f32_f16 v46, v1, v15
	buffer_load_b64 v[105:106], v21, s[16:19], 0 offen
	v_dot2acc_f32_f16 v68, v2, v13
	buffer_load_b64 v[107:108], v8, s[16:19], 0 offen
	v_dual_dot2acc_f32_f16 v60, v3, v12 :: v_dual_add_nc_u32 v21, s14, v87
	v_dot2acc_f32_f16 v82, v1, v4
	v_dual_dot2acc_f32_f16 v77, v2, v4 :: v_dual_dot2acc_f32_f16 v34, v3, v14
	s_delay_alu instid0(VALU_DEP_3)
	v_dual_dot2acc_f32_f16 v42, v2, v6 :: v_dual_lshlrev_b32 v87, 1, v21
	v_dual_dot2acc_f32_f16 v71, v3, v4 :: v_dual_dot2acc_f32_f16 v44, v2, v15
	v_dot2acc_f32_f16 v48, v1, v7
	buffer_load_b64 v[109:110], v87, s[16:19], 0 offen
	v_add_lshl_u32 v87, v21, s0, 1
	v_dual_dot2acc_f32_f16 v40, v3, v7 :: v_dual_add_nc_u32 v21, s14, v21
	ds_load_b128 v[0:3], v85 offset:14848
	v_dot2acc_f32_f16 v54, v11, v12
	v_dual_dot2acc_f32_f16 v37, v11, v15 :: v_dual_dot2acc_f32_f16 v62, v9, v12
	v_dot2acc_f32_f16 v58, v9, v13
	v_dot2acc_f32_f16 v72, v9, v4
	;; [unrolled: 1-line block ×3, first 2 shown]
	v_dual_dot2acc_f32_f16 v28, v9, v7 :: v_dual_dot2acc_f32_f16 v65, v10, v4
	v_dot2acc_f32_f16 v26, v9, v15
	v_dot2acc_f32_f16 v36, v11, v14
	v_dual_dot2acc_f32_f16 v32, v10, v6 :: v_dual_dot2acc_f32_f16 v57, v11, v4
	v_dot2acc_f32_f16 v56, v10, v13
	v_dot2acc_f32_f16 v30, v10, v14
	ds_load_b128 v[12:15], v86 offset:31232
	buffer_load_b64 v[111:112], v87, s[16:19], 0 offen
	v_dual_dot2acc_f32_f16 v38, v11, v6 :: v_dual_lshlrev_b32 v87, 1, v21
	ds_load_b128 v[4:7], v86 offset:31488
	ds_load_b128 v[8:11], v85 offset:15104
	buffer_load_b64 v[113:114], v87, s[16:19], 0 offen
	s_waitcnt lgkmcnt(2)
	v_dot2acc_f32_f16 v79, v0, v12
	v_dot2acc_f32_f16 v51, v0, v14
	;; [unrolled: 1-line block ×3, first 2 shown]
	v_dual_dot2acc_f32_f16 v67, v2, v12 :: v_dual_dot2acc_f32_f16 v80, v0, v13
	v_dual_dot2acc_f32_f16 v41, v2, v14 :: v_dual_dot2acc_f32_f16 v52, v0, v15
	s_waitcnt lgkmcnt(1)
	v_dot2acc_f32_f16 v83, v0, v5
	v_dot2acc_f32_f16 v49, v0, v6
	v_dual_dot2acc_f32_f16 v47, v1, v6 :: v_dual_dot2acc_f32_f16 v84, v0, v4
	v_dual_dot2acc_f32_f16 v75, v2, v5 :: v_dual_dot2acc_f32_f16 v50, v0, v7
	v_add_lshl_u32 v0, v21, s0, 1
	v_add_nc_u32_e32 v21, s14, v21
	v_dual_dot2acc_f32_f16 v73, v1, v12 :: v_dual_dot2acc_f32_f16 v68, v2, v13
	v_dual_dot2acc_f32_f16 v44, v2, v15 :: v_dual_dot2acc_f32_f16 v61, v3, v13
	s_delay_alu instid0(VALU_DEP_3)
	v_lshlrev_b32_e32 v87, 1, v21
	v_add_lshl_u32 v21, v21, s0, 1
	v_dot2acc_f32_f16 v35, v3, v15
	v_dual_dot2acc_f32_f16 v81, v1, v5 :: v_dual_dot2acc_f32_f16 v60, v3, v12
	s_clause 0x2
	buffer_load_b64 v[117:118], v87, s[16:19], 0 offen
	buffer_load_b64 v[119:120], v21, s[16:19], 0 offen
	;; [unrolled: 1-line block ×3, first 2 shown]
	v_dual_dot2acc_f32_f16 v77, v2, v4 :: v_dual_dot2acc_f32_f16 v34, v3, v14
	v_dot2acc_f32_f16 v43, v2, v7
	v_dot2acc_f32_f16 v71, v3, v4
	v_dot2acc_f32_f16 v69, v3, v5
	s_waitcnt lgkmcnt(0)
	v_dual_dot2acc_f32_f16 v39, v3, v6 :: v_dual_dot2acc_f32_f16 v64, v8, v12
	v_dot2acc_f32_f16 v25, v9, v14
	v_dot2acc_f32_f16 v55, v10, v12
	;; [unrolled: 1-line block ×4, first 2 shown]
	ds_load_b128 v[87:90], v86 offset:31744
	v_dot2acc_f32_f16 v74, v1, v13
	v_dot2acc_f32_f16 v46, v1, v15
	;; [unrolled: 1-line block ×5, first 2 shown]
	v_dual_dot2acc_f32_f16 v37, v11, v15 :: v_dual_dot2acc_f32_f16 v62, v9, v12
	v_dual_dot2acc_f32_f16 v23, v8, v6 :: v_dual_dot2acc_f32_f16 v58, v9, v13
	v_dot2acc_f32_f16 v70, v9, v5
	v_dual_dot2acc_f32_f16 v27, v9, v6 :: v_dual_dot2acc_f32_f16 v56, v10, v13
	v_dual_dot2acc_f32_f16 v28, v9, v7 :: v_dual_dot2acc_f32_f16 v65, v10, v4
	;; [unrolled: 1-line block ×3, first 2 shown]
	v_dot2acc_f32_f16 v54, v11, v12
	v_dot2acc_f32_f16 v32, v10, v6
	v_dual_dot2acc_f32_f16 v33, v10, v7 :: v_dual_dot2acc_f32_f16 v36, v11, v14
	v_dual_dot2acc_f32_f16 v57, v11, v4 :: v_dual_dot2acc_f32_f16 v30, v10, v14
	v_dual_dot2acc_f32_f16 v59, v11, v5 :: v_dual_dot2acc_f32_f16 v24, v8, v7
	ds_load_b128 v[12:15], v86 offset:32000
	v_dot2acc_f32_f16 v82, v1, v4
	v_dot2acc_f32_f16 v48, v1, v7
	;; [unrolled: 1-line block ×4, first 2 shown]
	ds_load_b128 v[0:3], v85 offset:15360
	v_dot2acc_f32_f16 v78, v8, v4
	v_dot2acc_f32_f16 v38, v11, v6
	v_dual_dot2acc_f32_f16 v29, v11, v7 :: v_dual_dot2acc_f32_f16 v76, v8, v5
	v_dot2acc_f32_f16 v72, v9, v4
	ds_load_b128 v[4:7], v85 offset:15616
	ds_load_b128 v[8:11], v86 offset:32256
	v_cmp_gt_i32_e64 s0, s41, v16
	v_add_nc_u32_e32 v21, 64, v17
	s_lshl_b32 s14, s40, 1
	s_delay_alu instid0(VALU_DEP_2) | instskip(NEXT) | instid1(VALU_DEP_1)
	s_and_b32 s1, s0, vcc_lo
	v_cmp_gt_i32_e64 s2, s42, v21
	s_delay_alu instid0(VALU_DEP_1)
	s_and_b32 s0, s0, s2
	s_waitcnt lgkmcnt(2)
	v_dot2acc_f32_f16 v79, v0, v87
	v_dot2acc_f32_f16 v51, v0, v89
	;; [unrolled: 1-line block ×4, first 2 shown]
	v_dual_dot2acc_f32_f16 v67, v2, v87 :: v_dual_dot2acc_f32_f16 v80, v0, v88
	v_dot2acc_f32_f16 v41, v2, v89
	v_dot2acc_f32_f16 v61, v3, v88
	v_dual_dot2acc_f32_f16 v74, v1, v88 :: v_dual_dot2acc_f32_f16 v35, v3, v90
	v_dot2acc_f32_f16 v52, v0, v90
	v_dot2acc_f32_f16 v83, v0, v13
	;; [unrolled: 1-line block ×3, first 2 shown]
	v_dual_dot2acc_f32_f16 v81, v1, v13 :: v_dual_dot2acc_f32_f16 v68, v2, v88
	v_dot2acc_f32_f16 v47, v1, v14
	v_dual_dot2acc_f32_f16 v77, v2, v12 :: v_dual_dot2acc_f32_f16 v60, v3, v87
	v_dot2acc_f32_f16 v75, v2, v13
	;; [unrolled: 2-line block ×3, first 2 shown]
	v_dot2acc_f32_f16 v69, v3, v13
	v_dot2acc_f32_f16 v39, v3, v14
	s_waitcnt lgkmcnt(1)
	v_dual_dot2acc_f32_f16 v25, v5, v89 :: v_dual_dot2acc_f32_f16 v40, v3, v15
	v_dot2acc_f32_f16 v55, v6, v87
	v_dual_dot2acc_f32_f16 v64, v4, v87 :: v_dual_dot2acc_f32_f16 v31, v6, v90
	v_dot2acc_f32_f16 v66, v4, v88
	v_dual_dot2acc_f32_f16 v53, v7, v88 :: v_dual_dot2acc_f32_f16 v42, v2, v14
	v_dual_dot2acc_f32_f16 v37, v7, v90 :: v_dual_dot2acc_f32_f16 v18, v4, v89
	;; [unrolled: 1-line block ×4, first 2 shown]
	v_dot2acc_f32_f16 v65, v6, v12
	v_dual_dot2acc_f32_f16 v58, v5, v88 :: v_dual_dot2acc_f32_f16 v63, v6, v13
	v_dot2acc_f32_f16 v33, v6, v15
	v_dot2acc_f32_f16 v54, v7, v87
	;; [unrolled: 1-line block ×3, first 2 shown]
	v_dual_dot2acc_f32_f16 v57, v7, v12 :: v_dual_dot2acc_f32_f16 v30, v6, v89
	ds_load_b128 v[86:89], v86 offset:32512
	v_dot2acc_f32_f16 v46, v1, v90
	v_dot2acc_f32_f16 v44, v2, v90
	;; [unrolled: 1-line block ×6, first 2 shown]
	ds_load_b128 v[0:3], v85 offset:15872
	v_dot2acc_f32_f16 v22, v4, v90
	v_dot2acc_f32_f16 v26, v5, v90
	;; [unrolled: 1-line block ×5, first 2 shown]
	v_dual_dot2acc_f32_f16 v32, v6, v14 :: v_dual_dot2acc_f32_f16 v59, v7, v13
	v_dot2acc_f32_f16 v78, v4, v12
	v_dot2acc_f32_f16 v38, v7, v14
	v_dual_dot2acc_f32_f16 v29, v7, v15 :: v_dual_dot2acc_f32_f16 v76, v4, v13
	v_dot2acc_f32_f16 v24, v4, v15
	ds_load_b128 v[4:7], v85 offset:16128
	s_waitcnt lgkmcnt(1)
	v_dot2acc_f32_f16 v79, v0, v8
	v_dot2acc_f32_f16 v51, v0, v10
	;; [unrolled: 1-line block ×7, first 2 shown]
	v_dual_dot2acc_f32_f16 v77, v2, v86 :: v_dual_dot2acc_f32_f16 v80, v0, v9
	v_dual_dot2acc_f32_f16 v43, v2, v89 :: v_dual_dot2acc_f32_f16 v84, v0, v86
	;; [unrolled: 1-line block ×3, first 2 shown]
	v_dot2acc_f32_f16 v73, v1, v8
	v_dual_dot2acc_f32_f16 v41, v2, v10 :: v_dual_dot2acc_f32_f16 v74, v1, v9
	v_dot2acc_f32_f16 v81, v1, v87
	v_dot2acc_f32_f16 v47, v1, v88
	;; [unrolled: 1-line block ×6, first 2 shown]
	s_waitcnt lgkmcnt(0)
	v_dot2acc_f32_f16 v65, v6, v86
	v_dual_dot2acc_f32_f16 v63, v6, v87 :: v_dual_dot2acc_f32_f16 v58, v5, v9
	v_dual_dot2acc_f32_f16 v48, v1, v89 :: v_dual_dot2acc_f32_f16 v59, v7, v87
	v_dot2acc_f32_f16 v76, v4, v87
	v_dot2acc_f32_f16 v82, v1, v86
	;; [unrolled: 1-line block ×7, first 2 shown]
	v_dual_dot2acc_f32_f16 v44, v2, v11 :: v_dual_dot2acc_f32_f16 v53, v7, v9
	v_dual_dot2acc_f32_f16 v42, v2, v88 :: v_dual_dot2acc_f32_f16 v61, v3, v9
	v_dot2acc_f32_f16 v34, v3, v10
	s_waitcnt vmcnt(15)
	v_cndmask_b32_e64 v0, 0, v91, s1
	v_cndmask_b32_e64 v15, 0, v92, s1
	v_dual_dot2acc_f32_f16 v25, v5, v10 :: v_dual_dot2acc_f32_f16 v40, v3, v89
	v_dot2acc_f32_f16 v55, v6, v8
	s_delay_alu instid0(VALU_DEP_4)
	v_lshrrev_b32_e32 v1, 16, v0
	s_waitcnt vmcnt(14)
	v_cndmask_b32_e64 v85, 0, v94, s0
	v_cndmask_b32_e64 v2, 0, v93, s0
	v_dot2acc_f32_f16 v56, v6, v9
	v_dot2acc_f32_f16 v31, v6, v11
	v_cvt_f32_f16_e32 v1, v1
	v_dual_dot2acc_f32_f16 v66, v4, v9 :: v_dual_dot2acc_f32_f16 v37, v7, v11
	v_dot2acc_f32_f16 v18, v4, v10
	v_dot2acc_f32_f16 v23, v4, v88
	s_delay_alu instid0(VALU_DEP_4) | instskip(SKIP_4) | instid1(VALU_DEP_4)
	v_dual_add_f32 v1, v80, v1 :: v_dual_dot2acc_f32_f16 v72, v5, v86
	v_or_b32_e32 v86, 1, v16
	v_dot2acc_f32_f16 v62, v5, v8
	v_dot2acc_f32_f16 v64, v4, v8
	v_dual_dot2acc_f32_f16 v27, v5, v88 :: v_dual_dot2acc_f32_f16 v22, v4, v11
	v_cmp_gt_i32_e64 s0, s41, v86
	v_dot2acc_f32_f16 v29, v7, v89
	v_dot2acc_f32_f16 v24, v4, v89
	v_cvt_f32_f16_e32 v0, v0
	v_cvt_f32_f16_e32 v3, v2
	s_and_b32 s1, s0, vcc_lo
	v_lshrrev_b32_e32 v2, 16, v2
	s_waitcnt vmcnt(13)
	v_cndmask_b32_e64 v4, 0, v19, s1
	v_dual_add_f32 v0, v79, v0 :: v_dual_add_f32 v3, v84, v3
	v_max_f32_e32 v84, 0, v1
	v_cvt_f32_f16_e32 v2, v2
	s_delay_alu instid0(VALU_DEP_4) | instskip(SKIP_2) | instid1(VALU_DEP_3)
	v_lshrrev_b32_e32 v1, 16, v4
	s_and_b32 s0, s0, s2
	v_dual_max_f32 v80, 0, v0 :: v_dual_dot2acc_f32_f16 v33, v6, v89
	v_add_f32_e32 v0, v83, v2
	s_waitcnt vmcnt(12)
	v_cndmask_b32_e64 v2, 0, v95, s0
	v_cvt_f32_f16_e32 v1, v1
	v_dot2acc_f32_f16 v32, v6, v88
	v_cndmask_b32_e64 v83, 0, v96, s0
	v_cndmask_b32_e64 v79, 0, v20, s1
	v_or_b32_e32 v91, 3, v16
	v_add_f32_e32 v1, v74, v1
	v_dual_dot2acc_f32_f16 v28, v5, v89 :: v_dual_max_f32 v89, 0, v0
	v_dot2acc_f32_f16 v70, v5, v87
	v_max_f32_e32 v87, 0, v3
	v_cvt_f32_f16_e32 v3, v2
	v_cvt_f32_f16_e32 v0, v4
	v_lshrrev_b32_e32 v2, 16, v2
	v_dot2acc_f32_f16 v36, v7, v10
	v_dot2acc_f32_f16 v26, v5, v11
	v_dual_add_f32 v3, v82, v3 :: v_dual_dot2acc_f32_f16 v38, v7, v88
	v_or_b32_e32 v88, 2, v16
	v_add_f32_e32 v0, v73, v0
	v_cvt_f32_f16_e32 v2, v2
	v_max_f32_e32 v82, 0, v1
	v_max_f32_e32 v90, 0, v3
	v_cmp_gt_i32_e64 s0, s41, v88
	v_max_f32_e32 v74, 0, v0
	v_add_f32_e32 v0, v81, v2
	v_dot2acc_f32_f16 v30, v6, v10
	v_dot2acc_f32_f16 v54, v7, v8
	s_and_b32 s1, s0, vcc_lo
	s_and_b32 s0, s0, s2
	s_waitcnt vmcnt(11)
	v_cndmask_b32_e64 v4, 0, v97, s1
	s_waitcnt vmcnt(10)
	v_cndmask_b32_e64 v2, 0, v99, s0
	v_cndmask_b32_e64 v81, 0, v100, s0
	v_cmp_gt_i32_e64 s0, s41, v91
	v_cndmask_b32_e64 v73, 0, v98, s1
	v_lshrrev_b32_e32 v1, 16, v4
	v_cvt_f32_f16_e32 v3, v2
	v_lshrrev_b32_e32 v2, 16, v2
	s_and_b32 s1, s0, vcc_lo
	v_max_f32_e32 v92, 0, v0
	v_cvt_f32_f16_e32 v1, v1
	v_cvt_f32_f16_e32 v0, v4
	v_add_f32_e32 v3, v77, v3
	v_cvt_f32_f16_e32 v2, v2
	s_waitcnt vmcnt(9)
	v_cndmask_b32_e64 v4, 0, v101, s1
	v_add_f32_e32 v1, v68, v1
	s_and_b32 s0, s0, s2
	v_max_f32_e32 v93, 0, v3
	s_waitcnt vmcnt(8)
	v_cndmask_b32_e64 v3, 0, v103, s0
	v_dual_add_f32 v0, v67, v0 :: v_dual_max_f32 v77, 0, v1
	v_add_f32_e32 v1, v75, v2
	v_lshrrev_b32_e32 v2, 16, v4
	v_cndmask_b32_e64 v75, 0, v104, s0
	s_delay_alu instid0(VALU_DEP_4)
	v_max_f32_e32 v68, 0, v0
	v_add_nc_u32_e32 v0, 64, v16
	v_max_f32_e32 v94, 0, v1
	v_cvt_f32_f16_e32 v1, v4
	v_cvt_f32_f16_e32 v2, v2
	v_cvt_f32_f16_e32 v4, v3
	v_lshrrev_b32_e32 v3, 16, v3
	v_cmp_gt_i32_e64 s0, s41, v0
	v_cndmask_b32_e64 v67, 0, v102, s1
	v_add_f32_e32 v2, v61, v2
	v_add_f32_e32 v4, v71, v4
	v_cvt_f32_f16_e32 v3, v3
	s_and_b32 s1, s0, vcc_lo
	s_and_b32 s0, s0, s2
	v_max_f32_e32 v61, 0, v2
	s_delay_alu instid0(VALU_DEP_2)
	v_dual_max_f32 v71, 0, v4 :: v_dual_add_f32 v2, v69, v3
	v_add_nc_u32_e32 v4, 0x41, v16
	s_waitcnt vmcnt(6)
	v_cndmask_b32_e64 v7, 0, v107, s0
	v_cndmask_b32_e64 v6, 0, v105, s1
	v_dual_max_f32 v69, 0, v2 :: v_dual_add_nc_u32 v10, 0x42, v16
	v_add_f32_e32 v5, v60, v1
	v_cndmask_b32_e64 v1, 0, v106, s1
	s_delay_alu instid0(VALU_DEP_4)
	v_lshrrev_b32_e32 v3, 16, v6
	v_cvt_f32_f16_e32 v2, v6
	v_cvt_f32_f16_e32 v6, v7
	v_max_f32_e32 v60, 0, v5
	v_cndmask_b32_e64 v5, 0, v108, s0
	v_cmp_gt_i32_e64 s0, s41, v4
	v_cvt_f32_f16_e32 v3, v3
	v_lshrrev_b32_e32 v7, 16, v7
	s_delay_alu instid0(VALU_DEP_3) | instskip(NEXT) | instid1(VALU_DEP_2)
	s_and_b32 s1, s0, vcc_lo
	v_add_f32_e32 v8, v66, v3
	s_waitcnt vmcnt(5)
	v_cndmask_b32_e64 v9, 0, v109, s1
	s_and_b32 s0, s0, s2
	v_cndmask_b32_e64 v13, 0, v110, s1
	s_waitcnt vmcnt(4)
	v_cndmask_b32_e64 v12, 0, v111, s0
	v_add_nc_u32_e32 v66, 0x43, v16
	v_lshrrev_b32_e32 v11, 16, v9
	v_cvt_f32_f16_e32 v9, v9
	v_cvt_f32_f16_e32 v7, v7
	;; [unrolled: 1-line block ×3, first 2 shown]
	v_lshrrev_b32_e32 v12, 16, v12
	v_cvt_f32_f16_e32 v11, v11
	v_dual_add_f32 v9, v62, v9 :: v_dual_add_f32 v2, v64, v2
	s_delay_alu instid0(VALU_DEP_4) | instskip(NEXT) | instid1(VALU_DEP_4)
	v_add_f32_e32 v14, v72, v14
	v_cvt_f32_f16_e32 v20, v12
	s_delay_alu instid0(VALU_DEP_3) | instskip(NEXT) | instid1(VALU_DEP_4)
	v_dual_add_f32 v11, v58, v11 :: v_dual_max_f32 v58, 0, v9
	v_dual_max_f32 v3, 0, v2 :: v_dual_max_f32 v2, 0, v8
	v_cndmask_b32_e64 v8, 0, v112, s0
	v_cmp_gt_i32_e64 s0, s41, v10
	s_delay_alu instid0(VALU_DEP_4) | instskip(SKIP_1) | instid1(VALU_DEP_3)
	v_dual_max_f32 v12, 0, v11 :: v_dual_max_f32 v11, 0, v14
	v_dual_add_f32 v14, v70, v20 :: v_dual_add_f32 v7, v76, v7
	s_and_b32 s1, s0, vcc_lo
	s_and_b32 s0, s0, s2
	s_waitcnt vmcnt(3)
	v_cndmask_b32_e64 v19, 0, v113, s1
	s_waitcnt vmcnt(0)
	v_cndmask_b32_e64 v20, 0, v115, s0
	v_cndmask_b32_e64 v64, 0, v116, s0
	v_cmp_gt_i32_e64 s0, s41, v66
	v_cndmask_b32_e64 v62, 0, v114, s1
	v_lshrrev_b32_e32 v9, 16, v19
	v_cvt_f32_f16_e32 v19, v19
	v_cmp_gt_i32_e64 s1, s33, v16
	s_and_b32 vcc_lo, s0, vcc_lo
	s_and_b32 s0, s0, s2
	v_cvt_f32_f16_e32 v9, v9
	v_add_f32_e32 v19, v55, v19
	v_cndmask_b32_e64 v72, 0, v119, s0
	v_cndmask_b32_e64 v70, 0, v120, s0
	s_lshl_b32 s2, s35, 6
	s_delay_alu instid0(VALU_DEP_3) | instskip(SKIP_3) | instid1(VALU_DEP_4)
	v_dual_add_f32 v55, v56, v9 :: v_dual_max_f32 v56, 0, v19
	v_lshrrev_b32_e32 v19, 16, v20
	v_max_f32_e32 v9, 0, v14
	v_cvt_f32_f16_e32 v14, v20
	v_dual_cndmask_b32 v20, 0, v117 :: v_dual_max_f32 v55, 0, v55
	s_delay_alu instid0(VALU_DEP_4) | instskip(NEXT) | instid1(VALU_DEP_3)
	v_cvt_f32_f16_e32 v19, v19
	v_dual_max_f32 v7, 0, v7 :: v_dual_add_f32 v14, v65, v14
	s_delay_alu instid0(VALU_DEP_3) | instskip(SKIP_1) | instid1(VALU_DEP_4)
	v_cvt_f32_f16_e32 v76, v20
	v_lshrrev_b32_e32 v20, 16, v20
	v_add_f32_e32 v19, v63, v19
	v_cndmask_b32_e32 v65, 0, v118, vcc_lo
	v_max_f32_e32 v63, 0, v14
	v_lshrrev_b32_e32 v14, 16, v72
	v_add_f32_e32 v54, v54, v76
	v_max_f32_e32 v76, 0, v19
	v_cvt_f32_f16_e32 v19, v20
	v_cvt_f32_f16_e32 v20, v72
	v_lshrrev_b32_e32 v72, 16, v15
	v_cvt_f32_f16_e32 v14, v14
	v_cvt_f32_f16_e32 v15, v15
	v_add_f32_e32 v19, v53, v19
	v_add_f32_e32 v20, v57, v20
	v_cvt_f32_f16_e32 v57, v72
	v_add_f32_e32 v53, v59, v14
	v_mul_lo_u32 v14, v16, s34
	v_add_f32_e32 v15, v51, v15
	s_delay_alu instid0(VALU_DEP_4)
	v_dual_max_f32 v59, 0, v19 :: v_dual_add_f32 v52, v52, v57
	v_max_f32_e32 v72, 0, v20
	v_cmp_gt_i32_e32 vcc_lo, s36, v17
	v_cvt_f16_f32_e32 v16, v84
	v_cvt_f32_f16_e32 v51, v79
	v_mad_u64_u32 v[19:20], null, v17, s35, v[14:15]
	v_dual_max_f32 v20, 0, v52 :: v_dual_max_f32 v15, 0, v15
	v_cvt_f16_f32_e32 v14, v80
	s_and_b32 s0, s1, vcc_lo
	v_add_f32_e32 v45, v45, v51
	s_delay_alu instid0(VALU_DEP_3)
	v_cvt_f16_f32_e32 v17, v20
	v_cvt_f16_f32_e32 v15, v15
	v_lshrrev_b32_e32 v20, 16, v85
	v_pack_b32_f16 v14, v14, v16
	v_cndmask_b32_e64 v16, 0x80000000, 0, s0
	v_cmp_gt_i32_e64 s0, s36, v21
	v_pack_b32_f16 v15, v15, v17
	v_cvt_f32_f16_e32 v17, v20
	v_cvt_f32_f16_e32 v20, v85
	v_lshl_add_u32 v16, v19, 1, v16
	s_and_b32 s1, s1, s0
	v_cvt_f16_f32_e32 v21, v89
	s_delay_alu instid0(VALU_DEP_3)
	v_dual_add_f32 v17, v50, v17 :: v_dual_add_f32 v20, v49, v20
	buffer_store_b64 v[14:15], v16, s[12:15], 0 offen
	v_add_nc_u32_e32 v16, s2, v19
	v_cvt_f16_f32_e32 v14, v87
	v_max_f32_e32 v15, 0, v17
	v_lshrrev_b32_e32 v17, 16, v83
	v_max_f32_e32 v20, 0, v20
	v_cndmask_b32_e64 v49, 0x80000000, 0, s1
	v_cvt_f32_f16_e32 v50, v83
	v_cvt_f16_f32_e32 v15, v15
	v_cvt_f32_f16_e32 v17, v17
	v_cvt_f16_f32_e32 v20, v20
	v_pack_b32_f16 v14, v14, v21
	v_lshl_add_u32 v21, v16, 1, v49
	v_cmp_gt_i32_e64 s1, s33, v86
	v_add_f32_e32 v17, v48, v17
	v_pack_b32_f16 v15, v20, v15
	v_dual_add_f32 v20, v47, v50 :: v_dual_add_nc_u32 v47, s34, v16
	v_cvt_f16_f32_e32 v48, v90
	s_delay_alu instid0(VALU_DEP_4) | instskip(SKIP_1) | instid1(VALU_DEP_4)
	v_max_f32_e32 v16, 0, v17
	v_lshrrev_b32_e32 v17, 16, v79
	v_max_f32_e32 v20, 0, v20
	v_cvt_f16_f32_e32 v49, v92
	v_max_f32_e32 v45, 0, v45
	v_cvt_f16_f32_e32 v50, v16
	v_cvt_f32_f16_e32 v17, v17
	v_cvt_f16_f32_e32 v20, v20
	s_and_b32 s3, s1, s0
	s_and_b32 s1, s1, vcc_lo
	v_pack_b32_f16 v16, v48, v49
	v_add_f32_e32 v46, v46, v17
	v_pack_b32_f16 v17, v20, v50
	v_cndmask_b32_e64 v20, 0x80000000, 0, s3
	v_add_nc_u32_e32 v48, s34, v19
	v_cvt_f16_f32_e32 v19, v74
	v_max_f32_e32 v46, 0, v46
	v_cvt_f16_f32_e32 v49, v82
	v_cvt_f16_f32_e32 v45, v45
	v_lshrrev_b32_e32 v50, 16, v73
	v_cndmask_b32_e64 v51, 0x80000000, 0, s1
	v_cvt_f16_f32_e32 v46, v46
	v_lshl_add_u32 v52, v47, 1, v20
	v_pack_b32_f16 v19, v19, v49
	buffer_store_b64 v[14:15], v21, s[12:15], 0 offen
	v_cvt_f32_f16_e32 v14, v73
	v_pack_b32_f16 v20, v45, v46
	v_cvt_f32_f16_e32 v45, v50
	v_lshl_add_u32 v46, v48, 1, v51
	buffer_store_b64 v[16:17], v52, s[12:15], 0 offen
	v_add_f32_e32 v14, v41, v14
	v_cmp_gt_i32_e64 s1, s33, v88
	v_add_f32_e32 v15, v44, v45
	buffer_store_b64 v[19:20], v46, s[12:15], 0 offen
	v_lshrrev_b32_e32 v19, 16, v81
	v_max_f32_e32 v14, 0, v14
	s_and_b32 s3, s1, vcc_lo
	v_dual_max_f32 v15, 0, v15 :: v_dual_add_nc_u32 v16, s34, v48
	s_delay_alu instid0(VALU_DEP_3) | instskip(SKIP_2) | instid1(VALU_DEP_4)
	v_cvt_f32_f16_e32 v19, v19
	v_cvt_f32_f16_e32 v21, v81
	v_cvt_f16_f32_e32 v41, v14
	v_cvt_f16_f32_e32 v15, v15
	v_cndmask_b32_e64 v44, 0x80000000, 0, s3
	v_add_f32_e32 v19, v43, v19
	v_cvt_f16_f32_e32 v17, v68
	v_cvt_f16_f32_e32 v20, v77
	v_add_f32_e32 v21, v42, v21
	v_pack_b32_f16 v15, v41, v15
	v_lshl_add_u32 v41, v16, 1, v44
	v_max_f32_e32 v16, 0, v19
	v_lshrrev_b32_e32 v19, 16, v75
	v_pack_b32_f16 v14, v17, v20
	v_max_f32_e32 v17, 0, v21
	v_cvt_f16_f32_e32 v20, v93
	v_cvt_f16_f32_e32 v21, v94
	v_cvt_f32_f16_e32 v19, v19
	v_cvt_f32_f16_e32 v43, v75
	v_cvt_f16_f32_e32 v42, v16
	s_and_b32 s1, s1, s0
	v_pack_b32_f16 v16, v20, v21
	v_add_f32_e32 v19, v40, v19
	v_add_f32_e32 v20, v39, v43
	v_cvt_f16_f32_e32 v17, v17
	v_cndmask_b32_e64 v21, 0x80000000, 0, s1
	v_cmp_gt_i32_e64 s1, s33, v91
	s_delay_alu instid0(VALU_DEP_4)
	v_dual_max_f32 v19, 0, v19 :: v_dual_max_f32 v20, 0, v20
	v_add_nc_u32_e32 v44, s34, v47
	v_pack_b32_f16 v17, v17, v42
	v_cvt_f16_f32_e32 v40, v71
	v_cvt_f16_f32_e32 v42, v69
	;; [unrolled: 1-line block ×3, first 2 shown]
	s_and_b32 s3, s1, s0
	v_cvt_f16_f32_e32 v20, v20
	v_lshrrev_b32_e32 v46, 16, v67
	v_add_nc_u32_e32 v39, s34, v44
	v_cndmask_b32_e64 v45, 0x80000000, 0, s3
	v_pack_b32_f16 v19, v40, v42
	v_pack_b32_f16 v20, v20, v43
	v_cvt_f32_f16_e32 v42, v46
	v_cvt_f32_f16_e32 v43, v67
	v_lshl_add_u32 v21, v44, 1, v21
	v_lshl_add_u32 v40, v39, 1, v45
	s_clause 0x2
	buffer_store_b64 v[14:15], v41, s[12:15], 0 offen
	buffer_store_b64 v[16:17], v21, s[12:15], 0 offen
	;; [unrolled: 1-line block ×3, first 2 shown]
	v_dual_add_f32 v14, v35, v42 :: v_dual_add_f32 v15, v34, v43
	v_lshrrev_b32_e32 v17, 16, v65
	v_subrev_nc_u32_e32 v16, s2, v39
	v_cvt_f32_f16_e32 v21, v65
	s_delay_alu instid0(VALU_DEP_4) | instskip(NEXT) | instid1(VALU_DEP_4)
	v_dual_max_f32 v14, 0, v14 :: v_dual_max_f32 v15, 0, v15
	v_cvt_f32_f16_e32 v17, v17
	s_and_b32 s1, s1, vcc_lo
	v_cvt_f16_f32_e32 v19, v60
	v_cvt_f16_f32_e32 v20, v61
	;; [unrolled: 1-line block ×4, first 2 shown]
	v_lshlrev_b32_e32 v35, 1, v16
	v_add_f32_e32 v17, v37, v17
	v_add_f32_e32 v21, v36, v21
	v_cndmask_b32_e64 v36, 0x80000000, 0, s1
	v_max_f32_e32 v54, 0, v54
	v_pack_b32_f16 v14, v19, v20
	v_pack_b32_f16 v15, v15, v34
	v_max_f32_e32 v17, 0, v17
	v_dual_max_f32 v19, 0, v21 :: v_dual_add_nc_u32 v20, v35, v36
	v_lshrrev_b32_e32 v36, 16, v70
	v_cmp_gt_i32_e64 s1, s33, v66
	v_cvt_f16_f32_e32 v21, v54
	v_cvt_f16_f32_e32 v34, v59
	;; [unrolled: 1-line block ×4, first 2 shown]
	buffer_store_b64 v[14:15], v20, s[12:15], 0 offen
	v_cvt_f32_f16_e32 v20, v36
	s_and_b32 s3, s1, vcc_lo
	v_pack_b32_f16 v14, v21, v34
	v_cvt_f32_f16_e32 v21, v70
	v_pack_b32_f16 v15, v19, v17
	v_cndmask_b32_e64 v17, 0x80000000, 0, s3
	v_add_f32_e32 v19, v29, v20
	s_lshl_b32 s3, s34, 7
	v_add_f32_e32 v20, v38, v21
	v_lshl_add_u32 v29, s4, 6, v16
	v_add3_u32 v21, v17, s3, v35
	v_max_f32_e32 v16, 0, v19
	v_lshrrev_b32_e32 v17, 16, v64
	v_max_f32_e32 v53, 0, v53
	v_max_f32_e32 v19, 0, v20
	v_cvt_f16_f32_e32 v20, v72
	v_cvt_f16_f32_e32 v35, v16
	v_cvt_f32_f16_e32 v16, v17
	v_cvt_f32_f16_e32 v17, v64
	v_cvt_f16_f32_e32 v34, v53
	v_cvt_f16_f32_e32 v19, v19
	s_and_b32 s1, s1, s0
	s_delay_alu instid0(VALU_DEP_3)
	v_dual_add_f32 v33, v33, v16 :: v_dual_add_f32 v32, v32, v17
	v_cndmask_b32_e64 v36, 0x80000000, 0, s1
	v_cmp_ge_i32_e64 s1, s33, v66
	v_pack_b32_f16 v16, v20, v34
	v_pack_b32_f16 v17, v19, v35
	v_dual_max_f32 v19, 0, v33 :: v_dual_max_f32 v20, 0, v32
	s_delay_alu instid0(VALU_DEP_4)
	s_and_b32 s1, s1, s0
	v_lshl_add_u32 v34, v29, 1, v36
	v_cvt_f16_f32_e32 v32, v63
	v_cvt_f16_f32_e32 v33, v76
	;; [unrolled: 1-line block ×4, first 2 shown]
	v_subrev_nc_u32_e32 v29, s34, v29
	v_cndmask_b32_e64 v37, 0x80000000, 0, s1
	v_lshrrev_b32_e32 v36, 16, v62
	v_pack_b32_f16 v19, v32, v33
	v_pack_b32_f16 v20, v20, v35
	v_cvt_f32_f16_e32 v33, v62
	v_lshl_add_u32 v35, v29, 1, v37
	v_cvt_f32_f16_e32 v32, v36
	s_clause 0x1
	buffer_store_b64 v[14:15], v21, s[12:15], 0 offen
	buffer_store_b64 v[16:17], v34, s[12:15], 0 offen
	v_cvt_f16_f32_e32 v17, v56
	v_cvt_f32_f16_e32 v21, v13
	buffer_store_b64 v[19:20], v35, s[12:15], 0 offen
	v_cvt_f16_f32_e32 v20, v55
	v_dual_add_f32 v14, v31, v32 :: v_dual_add_f32 v15, v30, v33
	v_lshrrev_b32_e32 v19, 16, v13
	v_add_f32_e32 v6, v78, v6
	s_delay_alu instid0(VALU_DEP_4) | instskip(SKIP_4) | instid1(VALU_DEP_4)
	v_pack_b32_f16 v13, v17, v20
	v_add_f32_e32 v17, v25, v21
	v_dual_max_f32 v15, 0, v15 :: v_dual_max_f32 v14, 0, v14
	v_cvt_f32_f16_e32 v19, v19
	v_subrev_nc_u32_e32 v16, s2, v29
	v_max_f32_e32 v17, 0, v17
	v_cmp_gt_i32_e64 s1, s33, v10
	v_cvt_f16_f32_e32 v14, v14
	v_cvt_f16_f32_e32 v15, v15
	v_lshrrev_b32_e32 v21, 16, v8
	v_subrev_nc_u32_e32 v20, s34, v16
	s_and_b32 s1, s1, vcc_lo
	v_cvt_f32_f16_e32 v8, v8
	v_cndmask_b32_e64 v29, 0x80000000, 0, s1
	v_pack_b32_f16 v14, v15, v14
	v_add_f32_e32 v15, v26, v19
	v_cmp_ge_i32_e64 s1, s33, v10
	v_max_f32_e32 v6, 0, v6
	v_lshl_add_u32 v19, v16, 1, v29
	v_cvt_f16_f32_e32 v16, v58
	v_max_f32_e32 v15, 0, v15
	v_cvt_f16_f32_e32 v10, v12
	v_cvt_f32_f16_e32 v21, v21
	s_and_b32 s1, s1, vcc_lo
	v_cvt_f16_f32_e32 v17, v17
	v_cvt_f16_f32_e32 v12, v15
	v_cndmask_b32_e64 v25, 0x80000000, 0, s1
	v_pack_b32_f16 v15, v16, v10
	v_add_f32_e32 v10, v28, v21
	v_add_f32_e32 v8, v27, v8
	v_pack_b32_f16 v16, v17, v12
	v_lshl_add_u32 v12, v20, 1, v25
	s_delay_alu instid0(VALU_DEP_4) | instskip(NEXT) | instid1(VALU_DEP_4)
	v_dual_max_f32 v10, 0, v10 :: v_dual_add_nc_u32 v17, s2, v20
	v_max_f32_e32 v8, 0, v8
	v_lshrrev_b32_e32 v20, 16, v5
	v_cvt_f16_f32_e32 v11, v11
	v_cvt_f16_f32_e32 v9, v9
	;; [unrolled: 1-line block ×4, first 2 shown]
	v_cvt_f32_f16_e32 v20, v20
	v_cvt_f32_f16_e32 v5, v5
	v_cmp_gt_i32_e64 s1, s33, v4
	v_pack_b32_f16 v8, v11, v9
	v_pack_b32_f16 v9, v21, v10
	v_add_f32_e32 v10, v24, v20
	v_cvt_f16_f32_e32 v6, v6
	v_add_f32_e32 v5, v23, v5
	v_cvt_f16_f32_e32 v7, v7
	v_lshrrev_b32_e32 v20, 16, v1
	s_and_b32 s1, s1, s0
	v_cvt_f32_f16_e32 v1, v1
	v_cndmask_b32_e64 v25, 0x80000000, 0, s1
	v_max_f32_e32 v21, 0, v5
	v_pack_b32_f16 v5, v6, v7
	v_cvt_f32_f16_e32 v7, v20
	v_cmp_ge_i32_e64 s1, s33, v4
	v_cmp_gt_i32_e64 s2, s33, v0
	v_lshl_add_u32 v11, v17, 1, v25
	v_max_f32_e32 v10, 0, v10
	v_subrev_nc_u32_e32 v17, s34, v17
	v_add_f32_e32 v7, v22, v7
	v_add_f32_e32 v0, v18, v1
	s_and_b32 s0, s1, s0
	v_cvt_f16_f32_e32 v6, v10
	v_cndmask_b32_e64 v1, 0x80000000, 0, s0
	s_and_b32 s0, s2, vcc_lo
	v_dual_max_f32 v7, 0, v7 :: v_dual_lshlrev_b32 v10, 1, v17
	v_max_f32_e32 v0, 0, v0
	v_cndmask_b32_e64 v17, 0x80000000, 0, s0
	s_lshl_b32 s0, s35, 7
	v_cvt_f16_f32_e32 v4, v21
	v_cvt_f16_f32_e32 v3, v3
	;; [unrolled: 1-line block ×5, first 2 shown]
	v_subrev_nc_u32_e32 v17, s0, v17
	v_pack_b32_f16 v6, v4, v6
	v_add_nc_u32_e32 v4, v10, v1
	v_pack_b32_f16 v0, v3, v2
	v_pack_b32_f16 v1, v18, v7
	v_add_nc_u32_e32 v2, v17, v10
	s_clause 0x4
	buffer_store_b64 v[13:14], v19, s[12:15], 0 offen
	buffer_store_b64 v[15:16], v12, s[12:15], 0 offen
	;; [unrolled: 1-line block ×5, first 2 shown]
	s_nop 0
	s_sendmsg sendmsg(MSG_DEALLOC_VGPRS)
	s_endpgm
	.section	.rodata,"a",@progbits
	.p2align	6, 0x0
	.amdhsa_kernel _ZN2ck16tensor_operation6device12_GLOBAL__N_137kernel_grouped_conv_fwd_dl_multiple_dINS_32GridwiseGemmDlMultipleD_km_kn_mnILi256EDF16_fNS_5TupleIJDF16_EEEDF16_NS0_12element_wise11PassThroughES8_NS7_7AddReluELNS_25InMemoryDataOperationEnumE0ENS_16TensorDescriptorINS5_IJNS_5EmbedINS5_IJiiiiEEESD_Lb0EEENS_11PassThroughIiEENS_3PadIiiiLb0EEESI_SG_SG_NSC_INS5_IJiiEEESJ_Lb0EEESK_SG_NS_23Merge_v2_magic_divisionINS5_IJiiiEEEEESN_NS_8RightPadIiiLb0EEESP_NS_7UnMergeISJ_Lb0EEESG_EEENS5_IJNS_8SequenceIJLi0EEEENST_IJLi1EEEENST_IJLi2EEEENST_IJLi3EEEENST_IJLi4EEEENST_IJLi5EEEENST_IJLi6EEEENST_IJLi7EEEENST_IJLi8EEEENST_IJLi9ELi11ELi13EEEENST_IJLi10ELi12ELi14EEEENST_IJLi15EEEENST_IJLi16EEEENST_IJLi18EEEENST_IJLi17EEEEEEENS5_IJNST_IJLi1ELi2ELi3ELi4EEEESZ_S10_S11_S12_NST_IJLi9EEEENST_IJLi10ELi11EEEENST_IJLi12ELi13EEEENST_IJLi14EEEES15_S16_S18_S17_NST_IJLi19ELi20EEEENST_IJLi21EEEEEEENST_IJLi19ELi21ELi20EEEElEENSB_INS5_IJSR_SP_SP_SR_SG_EEENS5_IJSU_SV_SW_SY_SX_EEENS5_IJNST_IJLi1ELi2EEEESX_SY_NST_IJLi5ELi6EEEES11_EEENST_IJLi5ELi7ELi6EEEElEENSB_INS5_IJSK_SP_SP_EEENS5_IJSU_SV_SW_EEENS5_IJS1M_SX_SY_EEENST_IJLi3ELi4EEEElEELi128ELi128ELi16ELi2ELi4ELi4ELi1ENST_IJLi8ELi2EEEES1W_NST_IJLi8ELi1ELi1ELi2EEEENST_IJLi2ELi1ELi128ELi1EEEENST_IJLi1ELi2ELi0ELi3EEEES1Z_NST_IJLi4ELi1ELi1ELi2EEEES1Z_NST_IJLi1ELi1ELi1ELi2EEEES1X_S1Y_S1Z_S1Z_S20_S1Z_S21_NST_IJLi0ELi1ELi2ELi3ELi4ELi5EEEELi5ELi4EEEDF16_NS5_IJPKDF16_EEEDF16_S8_S8_S9_NSB_INS5_IJSE_SG_SI_SI_SG_SG_SK_SK_SG_SN_SN_SP_SP_SR_SG_SG_NSQ_INS5_IJiNS_17integral_constantIiLi128EEEEEELb0EEENSF_INS27_IiLi2EEEEEEEENS5_IJSU_SV_SW_SX_SY_SZ_S10_S11_S12_S13_S14_S15_S16_S17_S18_NST_IJLi19EEEES1G_NST_IJLi20EEEEEEENS5_IJS1A_SZ_S10_S11_S12_S1B_S1C_S1D_S1E_S15_S16_S18_S17_S1F_S1G_NST_IJLi22EEEENST_IJLi23ELi24EEEENST_IJLi25EEEEEEENST_IJLi22ELi23ELi24ELi25EEEElEENSB_INS5_IJSR_SP_SP_SR_SG_SG_S2A_S2C_EEENS5_IJSU_SV_SW_SY_SX_SZ_S11_S10_EEENS5_IJS1M_SX_SY_S1N_S11_S12_NST_IJLi9ELi10EEEENST_IJLi11EEEEEEENST_IJLi8ELi9ELi10ELi11EEEElEENS5_IJNSB_INS5_IJSK_SP_SP_NSQ_INS5_IJiS2B_NS27_IiLi64EEEEEELb0EEES2W_EEENS5_IJSU_SV_SW_SX_SY_EEENS5_IJS1M_SX_SY_NST_IJLi5ELi6ELi7EEEENST_IJLi8ELi9ELi10EEEEEEENST_IJLi5ELi6ELi7ELi8ELi9ELi10EEEElEEEEES33_NS_31BlockToCTileMap_M00_N00_M01_N01ILi128ELi128ES1V_Lb0EEENS1_30ComputePtrOffsetOfStridedBatchILi1ELi1ELi1EvEELb0ELb1EEEvPKT0_S3B_T1_PT2_T3_T4_T5_iT6_T7_T8_T9_T10_T11_
		.amdhsa_group_segment_fixed_size 32768
		.amdhsa_private_segment_fixed_size 0
		.amdhsa_kernarg_size 968
		.amdhsa_user_sgpr_count 15
		.amdhsa_user_sgpr_dispatch_ptr 0
		.amdhsa_user_sgpr_queue_ptr 0
		.amdhsa_user_sgpr_kernarg_segment_ptr 1
		.amdhsa_user_sgpr_dispatch_id 0
		.amdhsa_user_sgpr_private_segment_size 0
		.amdhsa_wavefront_size32 1
		.amdhsa_uses_dynamic_stack 0
		.amdhsa_enable_private_segment 0
		.amdhsa_system_sgpr_workgroup_id_x 1
		.amdhsa_system_sgpr_workgroup_id_y 0
		.amdhsa_system_sgpr_workgroup_id_z 0
		.amdhsa_system_sgpr_workgroup_info 0
		.amdhsa_system_vgpr_workitem_id 0
		.amdhsa_next_free_vgpr 189
		.amdhsa_next_free_sgpr 51
		.amdhsa_reserve_vcc 1
		.amdhsa_float_round_mode_32 0
		.amdhsa_float_round_mode_16_64 0
		.amdhsa_float_denorm_mode_32 3
		.amdhsa_float_denorm_mode_16_64 3
		.amdhsa_dx10_clamp 1
		.amdhsa_ieee_mode 1
		.amdhsa_fp16_overflow 0
		.amdhsa_workgroup_processor_mode 1
		.amdhsa_memory_ordered 1
		.amdhsa_forward_progress 0
		.amdhsa_shared_vgpr_count 0
		.amdhsa_exception_fp_ieee_invalid_op 0
		.amdhsa_exception_fp_denorm_src 0
		.amdhsa_exception_fp_ieee_div_zero 0
		.amdhsa_exception_fp_ieee_overflow 0
		.amdhsa_exception_fp_ieee_underflow 0
		.amdhsa_exception_fp_ieee_inexact 0
		.amdhsa_exception_int_div_zero 0
	.end_amdhsa_kernel
	.section	.text._ZN2ck16tensor_operation6device12_GLOBAL__N_137kernel_grouped_conv_fwd_dl_multiple_dINS_32GridwiseGemmDlMultipleD_km_kn_mnILi256EDF16_fNS_5TupleIJDF16_EEEDF16_NS0_12element_wise11PassThroughES8_NS7_7AddReluELNS_25InMemoryDataOperationEnumE0ENS_16TensorDescriptorINS5_IJNS_5EmbedINS5_IJiiiiEEESD_Lb0EEENS_11PassThroughIiEENS_3PadIiiiLb0EEESI_SG_SG_NSC_INS5_IJiiEEESJ_Lb0EEESK_SG_NS_23Merge_v2_magic_divisionINS5_IJiiiEEEEESN_NS_8RightPadIiiLb0EEESP_NS_7UnMergeISJ_Lb0EEESG_EEENS5_IJNS_8SequenceIJLi0EEEENST_IJLi1EEEENST_IJLi2EEEENST_IJLi3EEEENST_IJLi4EEEENST_IJLi5EEEENST_IJLi6EEEENST_IJLi7EEEENST_IJLi8EEEENST_IJLi9ELi11ELi13EEEENST_IJLi10ELi12ELi14EEEENST_IJLi15EEEENST_IJLi16EEEENST_IJLi18EEEENST_IJLi17EEEEEEENS5_IJNST_IJLi1ELi2ELi3ELi4EEEESZ_S10_S11_S12_NST_IJLi9EEEENST_IJLi10ELi11EEEENST_IJLi12ELi13EEEENST_IJLi14EEEES15_S16_S18_S17_NST_IJLi19ELi20EEEENST_IJLi21EEEEEEENST_IJLi19ELi21ELi20EEEElEENSB_INS5_IJSR_SP_SP_SR_SG_EEENS5_IJSU_SV_SW_SY_SX_EEENS5_IJNST_IJLi1ELi2EEEESX_SY_NST_IJLi5ELi6EEEES11_EEENST_IJLi5ELi7ELi6EEEElEENSB_INS5_IJSK_SP_SP_EEENS5_IJSU_SV_SW_EEENS5_IJS1M_SX_SY_EEENST_IJLi3ELi4EEEElEELi128ELi128ELi16ELi2ELi4ELi4ELi1ENST_IJLi8ELi2EEEES1W_NST_IJLi8ELi1ELi1ELi2EEEENST_IJLi2ELi1ELi128ELi1EEEENST_IJLi1ELi2ELi0ELi3EEEES1Z_NST_IJLi4ELi1ELi1ELi2EEEES1Z_NST_IJLi1ELi1ELi1ELi2EEEES1X_S1Y_S1Z_S1Z_S20_S1Z_S21_NST_IJLi0ELi1ELi2ELi3ELi4ELi5EEEELi5ELi4EEEDF16_NS5_IJPKDF16_EEEDF16_S8_S8_S9_NSB_INS5_IJSE_SG_SI_SI_SG_SG_SK_SK_SG_SN_SN_SP_SP_SR_SG_SG_NSQ_INS5_IJiNS_17integral_constantIiLi128EEEEEELb0EEENSF_INS27_IiLi2EEEEEEEENS5_IJSU_SV_SW_SX_SY_SZ_S10_S11_S12_S13_S14_S15_S16_S17_S18_NST_IJLi19EEEES1G_NST_IJLi20EEEEEEENS5_IJS1A_SZ_S10_S11_S12_S1B_S1C_S1D_S1E_S15_S16_S18_S17_S1F_S1G_NST_IJLi22EEEENST_IJLi23ELi24EEEENST_IJLi25EEEEEEENST_IJLi22ELi23ELi24ELi25EEEElEENSB_INS5_IJSR_SP_SP_SR_SG_SG_S2A_S2C_EEENS5_IJSU_SV_SW_SY_SX_SZ_S11_S10_EEENS5_IJS1M_SX_SY_S1N_S11_S12_NST_IJLi9ELi10EEEENST_IJLi11EEEEEEENST_IJLi8ELi9ELi10ELi11EEEElEENS5_IJNSB_INS5_IJSK_SP_SP_NSQ_INS5_IJiS2B_NS27_IiLi64EEEEEELb0EEES2W_EEENS5_IJSU_SV_SW_SX_SY_EEENS5_IJS1M_SX_SY_NST_IJLi5ELi6ELi7EEEENST_IJLi8ELi9ELi10EEEEEEENST_IJLi5ELi6ELi7ELi8ELi9ELi10EEEElEEEEES33_NS_31BlockToCTileMap_M00_N00_M01_N01ILi128ELi128ES1V_Lb0EEENS1_30ComputePtrOffsetOfStridedBatchILi1ELi1ELi1EvEELb0ELb1EEEvPKT0_S3B_T1_PT2_T3_T4_T5_iT6_T7_T8_T9_T10_T11_,"axG",@progbits,_ZN2ck16tensor_operation6device12_GLOBAL__N_137kernel_grouped_conv_fwd_dl_multiple_dINS_32GridwiseGemmDlMultipleD_km_kn_mnILi256EDF16_fNS_5TupleIJDF16_EEEDF16_NS0_12element_wise11PassThroughES8_NS7_7AddReluELNS_25InMemoryDataOperationEnumE0ENS_16TensorDescriptorINS5_IJNS_5EmbedINS5_IJiiiiEEESD_Lb0EEENS_11PassThroughIiEENS_3PadIiiiLb0EEESI_SG_SG_NSC_INS5_IJiiEEESJ_Lb0EEESK_SG_NS_23Merge_v2_magic_divisionINS5_IJiiiEEEEESN_NS_8RightPadIiiLb0EEESP_NS_7UnMergeISJ_Lb0EEESG_EEENS5_IJNS_8SequenceIJLi0EEEENST_IJLi1EEEENST_IJLi2EEEENST_IJLi3EEEENST_IJLi4EEEENST_IJLi5EEEENST_IJLi6EEEENST_IJLi7EEEENST_IJLi8EEEENST_IJLi9ELi11ELi13EEEENST_IJLi10ELi12ELi14EEEENST_IJLi15EEEENST_IJLi16EEEENST_IJLi18EEEENST_IJLi17EEEEEEENS5_IJNST_IJLi1ELi2ELi3ELi4EEEESZ_S10_S11_S12_NST_IJLi9EEEENST_IJLi10ELi11EEEENST_IJLi12ELi13EEEENST_IJLi14EEEES15_S16_S18_S17_NST_IJLi19ELi20EEEENST_IJLi21EEEEEEENST_IJLi19ELi21ELi20EEEElEENSB_INS5_IJSR_SP_SP_SR_SG_EEENS5_IJSU_SV_SW_SY_SX_EEENS5_IJNST_IJLi1ELi2EEEESX_SY_NST_IJLi5ELi6EEEES11_EEENST_IJLi5ELi7ELi6EEEElEENSB_INS5_IJSK_SP_SP_EEENS5_IJSU_SV_SW_EEENS5_IJS1M_SX_SY_EEENST_IJLi3ELi4EEEElEELi128ELi128ELi16ELi2ELi4ELi4ELi1ENST_IJLi8ELi2EEEES1W_NST_IJLi8ELi1ELi1ELi2EEEENST_IJLi2ELi1ELi128ELi1EEEENST_IJLi1ELi2ELi0ELi3EEEES1Z_NST_IJLi4ELi1ELi1ELi2EEEES1Z_NST_IJLi1ELi1ELi1ELi2EEEES1X_S1Y_S1Z_S1Z_S20_S1Z_S21_NST_IJLi0ELi1ELi2ELi3ELi4ELi5EEEELi5ELi4EEEDF16_NS5_IJPKDF16_EEEDF16_S8_S8_S9_NSB_INS5_IJSE_SG_SI_SI_SG_SG_SK_SK_SG_SN_SN_SP_SP_SR_SG_SG_NSQ_INS5_IJiNS_17integral_constantIiLi128EEEEEELb0EEENSF_INS27_IiLi2EEEEEEEENS5_IJSU_SV_SW_SX_SY_SZ_S10_S11_S12_S13_S14_S15_S16_S17_S18_NST_IJLi19EEEES1G_NST_IJLi20EEEEEEENS5_IJS1A_SZ_S10_S11_S12_S1B_S1C_S1D_S1E_S15_S16_S18_S17_S1F_S1G_NST_IJLi22EEEENST_IJLi23ELi24EEEENST_IJLi25EEEEEEENST_IJLi22ELi23ELi24ELi25EEEElEENSB_INS5_IJSR_SP_SP_SR_SG_SG_S2A_S2C_EEENS5_IJSU_SV_SW_SY_SX_SZ_S11_S10_EEENS5_IJS1M_SX_SY_S1N_S11_S12_NST_IJLi9ELi10EEEENST_IJLi11EEEEEEENST_IJLi8ELi9ELi10ELi11EEEElEENS5_IJNSB_INS5_IJSK_SP_SP_NSQ_INS5_IJiS2B_NS27_IiLi64EEEEEELb0EEES2W_EEENS5_IJSU_SV_SW_SX_SY_EEENS5_IJS1M_SX_SY_NST_IJLi5ELi6ELi7EEEENST_IJLi8ELi9ELi10EEEEEEENST_IJLi5ELi6ELi7ELi8ELi9ELi10EEEElEEEEES33_NS_31BlockToCTileMap_M00_N00_M01_N01ILi128ELi128ES1V_Lb0EEENS1_30ComputePtrOffsetOfStridedBatchILi1ELi1ELi1EvEELb0ELb1EEEvPKT0_S3B_T1_PT2_T3_T4_T5_iT6_T7_T8_T9_T10_T11_,comdat
.Lfunc_end7:
	.size	_ZN2ck16tensor_operation6device12_GLOBAL__N_137kernel_grouped_conv_fwd_dl_multiple_dINS_32GridwiseGemmDlMultipleD_km_kn_mnILi256EDF16_fNS_5TupleIJDF16_EEEDF16_NS0_12element_wise11PassThroughES8_NS7_7AddReluELNS_25InMemoryDataOperationEnumE0ENS_16TensorDescriptorINS5_IJNS_5EmbedINS5_IJiiiiEEESD_Lb0EEENS_11PassThroughIiEENS_3PadIiiiLb0EEESI_SG_SG_NSC_INS5_IJiiEEESJ_Lb0EEESK_SG_NS_23Merge_v2_magic_divisionINS5_IJiiiEEEEESN_NS_8RightPadIiiLb0EEESP_NS_7UnMergeISJ_Lb0EEESG_EEENS5_IJNS_8SequenceIJLi0EEEENST_IJLi1EEEENST_IJLi2EEEENST_IJLi3EEEENST_IJLi4EEEENST_IJLi5EEEENST_IJLi6EEEENST_IJLi7EEEENST_IJLi8EEEENST_IJLi9ELi11ELi13EEEENST_IJLi10ELi12ELi14EEEENST_IJLi15EEEENST_IJLi16EEEENST_IJLi18EEEENST_IJLi17EEEEEEENS5_IJNST_IJLi1ELi2ELi3ELi4EEEESZ_S10_S11_S12_NST_IJLi9EEEENST_IJLi10ELi11EEEENST_IJLi12ELi13EEEENST_IJLi14EEEES15_S16_S18_S17_NST_IJLi19ELi20EEEENST_IJLi21EEEEEEENST_IJLi19ELi21ELi20EEEElEENSB_INS5_IJSR_SP_SP_SR_SG_EEENS5_IJSU_SV_SW_SY_SX_EEENS5_IJNST_IJLi1ELi2EEEESX_SY_NST_IJLi5ELi6EEEES11_EEENST_IJLi5ELi7ELi6EEEElEENSB_INS5_IJSK_SP_SP_EEENS5_IJSU_SV_SW_EEENS5_IJS1M_SX_SY_EEENST_IJLi3ELi4EEEElEELi128ELi128ELi16ELi2ELi4ELi4ELi1ENST_IJLi8ELi2EEEES1W_NST_IJLi8ELi1ELi1ELi2EEEENST_IJLi2ELi1ELi128ELi1EEEENST_IJLi1ELi2ELi0ELi3EEEES1Z_NST_IJLi4ELi1ELi1ELi2EEEES1Z_NST_IJLi1ELi1ELi1ELi2EEEES1X_S1Y_S1Z_S1Z_S20_S1Z_S21_NST_IJLi0ELi1ELi2ELi3ELi4ELi5EEEELi5ELi4EEEDF16_NS5_IJPKDF16_EEEDF16_S8_S8_S9_NSB_INS5_IJSE_SG_SI_SI_SG_SG_SK_SK_SG_SN_SN_SP_SP_SR_SG_SG_NSQ_INS5_IJiNS_17integral_constantIiLi128EEEEEELb0EEENSF_INS27_IiLi2EEEEEEEENS5_IJSU_SV_SW_SX_SY_SZ_S10_S11_S12_S13_S14_S15_S16_S17_S18_NST_IJLi19EEEES1G_NST_IJLi20EEEEEEENS5_IJS1A_SZ_S10_S11_S12_S1B_S1C_S1D_S1E_S15_S16_S18_S17_S1F_S1G_NST_IJLi22EEEENST_IJLi23ELi24EEEENST_IJLi25EEEEEEENST_IJLi22ELi23ELi24ELi25EEEElEENSB_INS5_IJSR_SP_SP_SR_SG_SG_S2A_S2C_EEENS5_IJSU_SV_SW_SY_SX_SZ_S11_S10_EEENS5_IJS1M_SX_SY_S1N_S11_S12_NST_IJLi9ELi10EEEENST_IJLi11EEEEEEENST_IJLi8ELi9ELi10ELi11EEEElEENS5_IJNSB_INS5_IJSK_SP_SP_NSQ_INS5_IJiS2B_NS27_IiLi64EEEEEELb0EEES2W_EEENS5_IJSU_SV_SW_SX_SY_EEENS5_IJS1M_SX_SY_NST_IJLi5ELi6ELi7EEEENST_IJLi8ELi9ELi10EEEEEEENST_IJLi5ELi6ELi7ELi8ELi9ELi10EEEElEEEEES33_NS_31BlockToCTileMap_M00_N00_M01_N01ILi128ELi128ES1V_Lb0EEENS1_30ComputePtrOffsetOfStridedBatchILi1ELi1ELi1EvEELb0ELb1EEEvPKT0_S3B_T1_PT2_T3_T4_T5_iT6_T7_T8_T9_T10_T11_, .Lfunc_end7-_ZN2ck16tensor_operation6device12_GLOBAL__N_137kernel_grouped_conv_fwd_dl_multiple_dINS_32GridwiseGemmDlMultipleD_km_kn_mnILi256EDF16_fNS_5TupleIJDF16_EEEDF16_NS0_12element_wise11PassThroughES8_NS7_7AddReluELNS_25InMemoryDataOperationEnumE0ENS_16TensorDescriptorINS5_IJNS_5EmbedINS5_IJiiiiEEESD_Lb0EEENS_11PassThroughIiEENS_3PadIiiiLb0EEESI_SG_SG_NSC_INS5_IJiiEEESJ_Lb0EEESK_SG_NS_23Merge_v2_magic_divisionINS5_IJiiiEEEEESN_NS_8RightPadIiiLb0EEESP_NS_7UnMergeISJ_Lb0EEESG_EEENS5_IJNS_8SequenceIJLi0EEEENST_IJLi1EEEENST_IJLi2EEEENST_IJLi3EEEENST_IJLi4EEEENST_IJLi5EEEENST_IJLi6EEEENST_IJLi7EEEENST_IJLi8EEEENST_IJLi9ELi11ELi13EEEENST_IJLi10ELi12ELi14EEEENST_IJLi15EEEENST_IJLi16EEEENST_IJLi18EEEENST_IJLi17EEEEEEENS5_IJNST_IJLi1ELi2ELi3ELi4EEEESZ_S10_S11_S12_NST_IJLi9EEEENST_IJLi10ELi11EEEENST_IJLi12ELi13EEEENST_IJLi14EEEES15_S16_S18_S17_NST_IJLi19ELi20EEEENST_IJLi21EEEEEEENST_IJLi19ELi21ELi20EEEElEENSB_INS5_IJSR_SP_SP_SR_SG_EEENS5_IJSU_SV_SW_SY_SX_EEENS5_IJNST_IJLi1ELi2EEEESX_SY_NST_IJLi5ELi6EEEES11_EEENST_IJLi5ELi7ELi6EEEElEENSB_INS5_IJSK_SP_SP_EEENS5_IJSU_SV_SW_EEENS5_IJS1M_SX_SY_EEENST_IJLi3ELi4EEEElEELi128ELi128ELi16ELi2ELi4ELi4ELi1ENST_IJLi8ELi2EEEES1W_NST_IJLi8ELi1ELi1ELi2EEEENST_IJLi2ELi1ELi128ELi1EEEENST_IJLi1ELi2ELi0ELi3EEEES1Z_NST_IJLi4ELi1ELi1ELi2EEEES1Z_NST_IJLi1ELi1ELi1ELi2EEEES1X_S1Y_S1Z_S1Z_S20_S1Z_S21_NST_IJLi0ELi1ELi2ELi3ELi4ELi5EEEELi5ELi4EEEDF16_NS5_IJPKDF16_EEEDF16_S8_S8_S9_NSB_INS5_IJSE_SG_SI_SI_SG_SG_SK_SK_SG_SN_SN_SP_SP_SR_SG_SG_NSQ_INS5_IJiNS_17integral_constantIiLi128EEEEEELb0EEENSF_INS27_IiLi2EEEEEEEENS5_IJSU_SV_SW_SX_SY_SZ_S10_S11_S12_S13_S14_S15_S16_S17_S18_NST_IJLi19EEEES1G_NST_IJLi20EEEEEEENS5_IJS1A_SZ_S10_S11_S12_S1B_S1C_S1D_S1E_S15_S16_S18_S17_S1F_S1G_NST_IJLi22EEEENST_IJLi23ELi24EEEENST_IJLi25EEEEEEENST_IJLi22ELi23ELi24ELi25EEEElEENSB_INS5_IJSR_SP_SP_SR_SG_SG_S2A_S2C_EEENS5_IJSU_SV_SW_SY_SX_SZ_S11_S10_EEENS5_IJS1M_SX_SY_S1N_S11_S12_NST_IJLi9ELi10EEEENST_IJLi11EEEEEEENST_IJLi8ELi9ELi10ELi11EEEElEENS5_IJNSB_INS5_IJSK_SP_SP_NSQ_INS5_IJiS2B_NS27_IiLi64EEEEEELb0EEES2W_EEENS5_IJSU_SV_SW_SX_SY_EEENS5_IJS1M_SX_SY_NST_IJLi5ELi6ELi7EEEENST_IJLi8ELi9ELi10EEEEEEENST_IJLi5ELi6ELi7ELi8ELi9ELi10EEEElEEEEES33_NS_31BlockToCTileMap_M00_N00_M01_N01ILi128ELi128ES1V_Lb0EEENS1_30ComputePtrOffsetOfStridedBatchILi1ELi1ELi1EvEELb0ELb1EEEvPKT0_S3B_T1_PT2_T3_T4_T5_iT6_T7_T8_T9_T10_T11_
                                        ; -- End function
	.section	.AMDGPU.csdata,"",@progbits
; Kernel info:
; codeLenInByte = 15308
; NumSgprs: 53
; NumVgprs: 189
; ScratchSize: 0
; MemoryBound: 0
; FloatMode: 240
; IeeeMode: 1
; LDSByteSize: 32768 bytes/workgroup (compile time only)
; SGPRBlocks: 6
; VGPRBlocks: 23
; NumSGPRsForWavesPerEU: 53
; NumVGPRsForWavesPerEU: 189
; Occupancy: 8
; WaveLimiterHint : 0
; COMPUTE_PGM_RSRC2:SCRATCH_EN: 0
; COMPUTE_PGM_RSRC2:USER_SGPR: 15
; COMPUTE_PGM_RSRC2:TRAP_HANDLER: 0
; COMPUTE_PGM_RSRC2:TGID_X_EN: 1
; COMPUTE_PGM_RSRC2:TGID_Y_EN: 0
; COMPUTE_PGM_RSRC2:TGID_Z_EN: 0
; COMPUTE_PGM_RSRC2:TIDIG_COMP_CNT: 0
	.section	.text._ZN2ck16tensor_operation6device12_GLOBAL__N_137kernel_grouped_conv_fwd_dl_multiple_dINS_32GridwiseGemmDlMultipleD_km_kn_mnILi256EDF16_fNS_5TupleIJDF16_EEEDF16_NS0_12element_wise11PassThroughES8_NS7_7AddReluELNS_25InMemoryDataOperationEnumE0ENS_16TensorDescriptorINS5_IJNS_5EmbedINS5_IJiiiiEEESD_Lb0EEENS_11PassThroughIiEENS_3PadIiiiLb0EEESI_SG_SG_NSC_INS5_IJiiEEESJ_Lb0EEESK_SG_NS_23Merge_v2_magic_divisionINS5_IJiiiEEEEESN_NS_8RightPadIiiLb0EEESP_NS_7UnMergeISJ_Lb0EEESG_EEENS5_IJNS_8SequenceIJLi0EEEENST_IJLi1EEEENST_IJLi2EEEENST_IJLi3EEEENST_IJLi4EEEENST_IJLi5EEEENST_IJLi6EEEENST_IJLi7EEEENST_IJLi8EEEENST_IJLi9ELi11ELi13EEEENST_IJLi10ELi12ELi14EEEENST_IJLi15EEEENST_IJLi16EEEENST_IJLi18EEEENST_IJLi17EEEEEEENS5_IJNST_IJLi1ELi2ELi3ELi4EEEESZ_S10_S11_S12_NST_IJLi9EEEENST_IJLi10ELi11EEEENST_IJLi12ELi13EEEENST_IJLi14EEEES15_S16_S18_S17_NST_IJLi19ELi20EEEENST_IJLi21EEEEEEENST_IJLi19ELi21ELi20EEEElEENSB_INS5_IJSR_SP_SP_SR_SG_EEENS5_IJSU_SV_SW_SY_SX_EEENS5_IJNST_IJLi1ELi2EEEESX_SY_NST_IJLi5ELi6EEEES11_EEENST_IJLi5ELi7ELi6EEEElEENSB_INS5_IJSK_SP_SP_EEENS5_IJSU_SV_SW_EEENS5_IJS1M_SX_SY_EEENST_IJLi3ELi4EEEElEELi128ELi128ELi16ELi2ELi4ELi4ELi1ENST_IJLi8ELi2EEEES1W_NST_IJLi8ELi1ELi1ELi2EEEENST_IJLi2ELi1ELi128ELi1EEEENST_IJLi1ELi2ELi0ELi3EEEES1Z_NST_IJLi4ELi1ELi1ELi2EEEES1Z_NST_IJLi1ELi1ELi1ELi2EEEES1X_S1Y_S1Z_S1Z_S20_S1Z_S21_NST_IJLi0ELi1ELi2ELi3ELi4ELi5EEEELi5ELi4EEEDF16_NS5_IJPKDF16_EEEDF16_S8_S8_S9_NSB_INS5_IJSE_SG_SI_SI_SG_SG_SK_SK_SG_SN_SN_SP_SP_SR_SG_SG_NSQ_INS5_IJiNS_17integral_constantIiLi128EEEEEELb0EEENSF_INS27_IiLi2EEEEEEEENS5_IJSU_SV_SW_SX_SY_SZ_S10_S11_S12_S13_S14_S15_S16_S17_S18_NST_IJLi19EEEES1G_NST_IJLi20EEEEEEENS5_IJS1A_SZ_S10_S11_S12_S1B_S1C_S1D_S1E_S15_S16_S18_S17_S1F_S1G_NST_IJLi22EEEENST_IJLi23ELi24EEEENST_IJLi25EEEEEEENST_IJLi22ELi23ELi24ELi25EEEElEENSB_INS5_IJSR_SP_SP_SR_SG_SG_S2A_S2C_EEENS5_IJSU_SV_SW_SY_SX_SZ_S11_S10_EEENS5_IJS1M_SX_SY_S1N_S11_S12_NST_IJLi9ELi10EEEENST_IJLi11EEEEEEENST_IJLi8ELi9ELi10ELi11EEEElEENS5_IJNSB_INS5_IJSK_SP_SP_NSQ_INS5_IJiS2B_NS27_IiLi64EEEEEELb0EEES2W_EEENS5_IJSU_SV_SW_SX_SY_EEENS5_IJS1M_SX_SY_NST_IJLi5ELi6ELi7EEEENST_IJLi8ELi9ELi10EEEEEEENST_IJLi5ELi6ELi7ELi8ELi9ELi10EEEElEEEEES33_NS_31BlockToCTileMap_M00_N00_M01_N01ILi128ELi128ES1V_Lb0EEENS1_30ComputePtrOffsetOfStridedBatchILi1ELi1ELi1EvEELb0ELb0EEEvPKT0_S3B_T1_PT2_T3_T4_T5_iT6_T7_T8_T9_T10_T11_,"axG",@progbits,_ZN2ck16tensor_operation6device12_GLOBAL__N_137kernel_grouped_conv_fwd_dl_multiple_dINS_32GridwiseGemmDlMultipleD_km_kn_mnILi256EDF16_fNS_5TupleIJDF16_EEEDF16_NS0_12element_wise11PassThroughES8_NS7_7AddReluELNS_25InMemoryDataOperationEnumE0ENS_16TensorDescriptorINS5_IJNS_5EmbedINS5_IJiiiiEEESD_Lb0EEENS_11PassThroughIiEENS_3PadIiiiLb0EEESI_SG_SG_NSC_INS5_IJiiEEESJ_Lb0EEESK_SG_NS_23Merge_v2_magic_divisionINS5_IJiiiEEEEESN_NS_8RightPadIiiLb0EEESP_NS_7UnMergeISJ_Lb0EEESG_EEENS5_IJNS_8SequenceIJLi0EEEENST_IJLi1EEEENST_IJLi2EEEENST_IJLi3EEEENST_IJLi4EEEENST_IJLi5EEEENST_IJLi6EEEENST_IJLi7EEEENST_IJLi8EEEENST_IJLi9ELi11ELi13EEEENST_IJLi10ELi12ELi14EEEENST_IJLi15EEEENST_IJLi16EEEENST_IJLi18EEEENST_IJLi17EEEEEEENS5_IJNST_IJLi1ELi2ELi3ELi4EEEESZ_S10_S11_S12_NST_IJLi9EEEENST_IJLi10ELi11EEEENST_IJLi12ELi13EEEENST_IJLi14EEEES15_S16_S18_S17_NST_IJLi19ELi20EEEENST_IJLi21EEEEEEENST_IJLi19ELi21ELi20EEEElEENSB_INS5_IJSR_SP_SP_SR_SG_EEENS5_IJSU_SV_SW_SY_SX_EEENS5_IJNST_IJLi1ELi2EEEESX_SY_NST_IJLi5ELi6EEEES11_EEENST_IJLi5ELi7ELi6EEEElEENSB_INS5_IJSK_SP_SP_EEENS5_IJSU_SV_SW_EEENS5_IJS1M_SX_SY_EEENST_IJLi3ELi4EEEElEELi128ELi128ELi16ELi2ELi4ELi4ELi1ENST_IJLi8ELi2EEEES1W_NST_IJLi8ELi1ELi1ELi2EEEENST_IJLi2ELi1ELi128ELi1EEEENST_IJLi1ELi2ELi0ELi3EEEES1Z_NST_IJLi4ELi1ELi1ELi2EEEES1Z_NST_IJLi1ELi1ELi1ELi2EEEES1X_S1Y_S1Z_S1Z_S20_S1Z_S21_NST_IJLi0ELi1ELi2ELi3ELi4ELi5EEEELi5ELi4EEEDF16_NS5_IJPKDF16_EEEDF16_S8_S8_S9_NSB_INS5_IJSE_SG_SI_SI_SG_SG_SK_SK_SG_SN_SN_SP_SP_SR_SG_SG_NSQ_INS5_IJiNS_17integral_constantIiLi128EEEEEELb0EEENSF_INS27_IiLi2EEEEEEEENS5_IJSU_SV_SW_SX_SY_SZ_S10_S11_S12_S13_S14_S15_S16_S17_S18_NST_IJLi19EEEES1G_NST_IJLi20EEEEEEENS5_IJS1A_SZ_S10_S11_S12_S1B_S1C_S1D_S1E_S15_S16_S18_S17_S1F_S1G_NST_IJLi22EEEENST_IJLi23ELi24EEEENST_IJLi25EEEEEEENST_IJLi22ELi23ELi24ELi25EEEElEENSB_INS5_IJSR_SP_SP_SR_SG_SG_S2A_S2C_EEENS5_IJSU_SV_SW_SY_SX_SZ_S11_S10_EEENS5_IJS1M_SX_SY_S1N_S11_S12_NST_IJLi9ELi10EEEENST_IJLi11EEEEEEENST_IJLi8ELi9ELi10ELi11EEEElEENS5_IJNSB_INS5_IJSK_SP_SP_NSQ_INS5_IJiS2B_NS27_IiLi64EEEEEELb0EEES2W_EEENS5_IJSU_SV_SW_SX_SY_EEENS5_IJS1M_SX_SY_NST_IJLi5ELi6ELi7EEEENST_IJLi8ELi9ELi10EEEEEEENST_IJLi5ELi6ELi7ELi8ELi9ELi10EEEElEEEEES33_NS_31BlockToCTileMap_M00_N00_M01_N01ILi128ELi128ES1V_Lb0EEENS1_30ComputePtrOffsetOfStridedBatchILi1ELi1ELi1EvEELb0ELb0EEEvPKT0_S3B_T1_PT2_T3_T4_T5_iT6_T7_T8_T9_T10_T11_,comdat
	.globl	_ZN2ck16tensor_operation6device12_GLOBAL__N_137kernel_grouped_conv_fwd_dl_multiple_dINS_32GridwiseGemmDlMultipleD_km_kn_mnILi256EDF16_fNS_5TupleIJDF16_EEEDF16_NS0_12element_wise11PassThroughES8_NS7_7AddReluELNS_25InMemoryDataOperationEnumE0ENS_16TensorDescriptorINS5_IJNS_5EmbedINS5_IJiiiiEEESD_Lb0EEENS_11PassThroughIiEENS_3PadIiiiLb0EEESI_SG_SG_NSC_INS5_IJiiEEESJ_Lb0EEESK_SG_NS_23Merge_v2_magic_divisionINS5_IJiiiEEEEESN_NS_8RightPadIiiLb0EEESP_NS_7UnMergeISJ_Lb0EEESG_EEENS5_IJNS_8SequenceIJLi0EEEENST_IJLi1EEEENST_IJLi2EEEENST_IJLi3EEEENST_IJLi4EEEENST_IJLi5EEEENST_IJLi6EEEENST_IJLi7EEEENST_IJLi8EEEENST_IJLi9ELi11ELi13EEEENST_IJLi10ELi12ELi14EEEENST_IJLi15EEEENST_IJLi16EEEENST_IJLi18EEEENST_IJLi17EEEEEEENS5_IJNST_IJLi1ELi2ELi3ELi4EEEESZ_S10_S11_S12_NST_IJLi9EEEENST_IJLi10ELi11EEEENST_IJLi12ELi13EEEENST_IJLi14EEEES15_S16_S18_S17_NST_IJLi19ELi20EEEENST_IJLi21EEEEEEENST_IJLi19ELi21ELi20EEEElEENSB_INS5_IJSR_SP_SP_SR_SG_EEENS5_IJSU_SV_SW_SY_SX_EEENS5_IJNST_IJLi1ELi2EEEESX_SY_NST_IJLi5ELi6EEEES11_EEENST_IJLi5ELi7ELi6EEEElEENSB_INS5_IJSK_SP_SP_EEENS5_IJSU_SV_SW_EEENS5_IJS1M_SX_SY_EEENST_IJLi3ELi4EEEElEELi128ELi128ELi16ELi2ELi4ELi4ELi1ENST_IJLi8ELi2EEEES1W_NST_IJLi8ELi1ELi1ELi2EEEENST_IJLi2ELi1ELi128ELi1EEEENST_IJLi1ELi2ELi0ELi3EEEES1Z_NST_IJLi4ELi1ELi1ELi2EEEES1Z_NST_IJLi1ELi1ELi1ELi2EEEES1X_S1Y_S1Z_S1Z_S20_S1Z_S21_NST_IJLi0ELi1ELi2ELi3ELi4ELi5EEEELi5ELi4EEEDF16_NS5_IJPKDF16_EEEDF16_S8_S8_S9_NSB_INS5_IJSE_SG_SI_SI_SG_SG_SK_SK_SG_SN_SN_SP_SP_SR_SG_SG_NSQ_INS5_IJiNS_17integral_constantIiLi128EEEEEELb0EEENSF_INS27_IiLi2EEEEEEEENS5_IJSU_SV_SW_SX_SY_SZ_S10_S11_S12_S13_S14_S15_S16_S17_S18_NST_IJLi19EEEES1G_NST_IJLi20EEEEEEENS5_IJS1A_SZ_S10_S11_S12_S1B_S1C_S1D_S1E_S15_S16_S18_S17_S1F_S1G_NST_IJLi22EEEENST_IJLi23ELi24EEEENST_IJLi25EEEEEEENST_IJLi22ELi23ELi24ELi25EEEElEENSB_INS5_IJSR_SP_SP_SR_SG_SG_S2A_S2C_EEENS5_IJSU_SV_SW_SY_SX_SZ_S11_S10_EEENS5_IJS1M_SX_SY_S1N_S11_S12_NST_IJLi9ELi10EEEENST_IJLi11EEEEEEENST_IJLi8ELi9ELi10ELi11EEEElEENS5_IJNSB_INS5_IJSK_SP_SP_NSQ_INS5_IJiS2B_NS27_IiLi64EEEEEELb0EEES2W_EEENS5_IJSU_SV_SW_SX_SY_EEENS5_IJS1M_SX_SY_NST_IJLi5ELi6ELi7EEEENST_IJLi8ELi9ELi10EEEEEEENST_IJLi5ELi6ELi7ELi8ELi9ELi10EEEElEEEEES33_NS_31BlockToCTileMap_M00_N00_M01_N01ILi128ELi128ES1V_Lb0EEENS1_30ComputePtrOffsetOfStridedBatchILi1ELi1ELi1EvEELb0ELb0EEEvPKT0_S3B_T1_PT2_T3_T4_T5_iT6_T7_T8_T9_T10_T11_ ; -- Begin function _ZN2ck16tensor_operation6device12_GLOBAL__N_137kernel_grouped_conv_fwd_dl_multiple_dINS_32GridwiseGemmDlMultipleD_km_kn_mnILi256EDF16_fNS_5TupleIJDF16_EEEDF16_NS0_12element_wise11PassThroughES8_NS7_7AddReluELNS_25InMemoryDataOperationEnumE0ENS_16TensorDescriptorINS5_IJNS_5EmbedINS5_IJiiiiEEESD_Lb0EEENS_11PassThroughIiEENS_3PadIiiiLb0EEESI_SG_SG_NSC_INS5_IJiiEEESJ_Lb0EEESK_SG_NS_23Merge_v2_magic_divisionINS5_IJiiiEEEEESN_NS_8RightPadIiiLb0EEESP_NS_7UnMergeISJ_Lb0EEESG_EEENS5_IJNS_8SequenceIJLi0EEEENST_IJLi1EEEENST_IJLi2EEEENST_IJLi3EEEENST_IJLi4EEEENST_IJLi5EEEENST_IJLi6EEEENST_IJLi7EEEENST_IJLi8EEEENST_IJLi9ELi11ELi13EEEENST_IJLi10ELi12ELi14EEEENST_IJLi15EEEENST_IJLi16EEEENST_IJLi18EEEENST_IJLi17EEEEEEENS5_IJNST_IJLi1ELi2ELi3ELi4EEEESZ_S10_S11_S12_NST_IJLi9EEEENST_IJLi10ELi11EEEENST_IJLi12ELi13EEEENST_IJLi14EEEES15_S16_S18_S17_NST_IJLi19ELi20EEEENST_IJLi21EEEEEEENST_IJLi19ELi21ELi20EEEElEENSB_INS5_IJSR_SP_SP_SR_SG_EEENS5_IJSU_SV_SW_SY_SX_EEENS5_IJNST_IJLi1ELi2EEEESX_SY_NST_IJLi5ELi6EEEES11_EEENST_IJLi5ELi7ELi6EEEElEENSB_INS5_IJSK_SP_SP_EEENS5_IJSU_SV_SW_EEENS5_IJS1M_SX_SY_EEENST_IJLi3ELi4EEEElEELi128ELi128ELi16ELi2ELi4ELi4ELi1ENST_IJLi8ELi2EEEES1W_NST_IJLi8ELi1ELi1ELi2EEEENST_IJLi2ELi1ELi128ELi1EEEENST_IJLi1ELi2ELi0ELi3EEEES1Z_NST_IJLi4ELi1ELi1ELi2EEEES1Z_NST_IJLi1ELi1ELi1ELi2EEEES1X_S1Y_S1Z_S1Z_S20_S1Z_S21_NST_IJLi0ELi1ELi2ELi3ELi4ELi5EEEELi5ELi4EEEDF16_NS5_IJPKDF16_EEEDF16_S8_S8_S9_NSB_INS5_IJSE_SG_SI_SI_SG_SG_SK_SK_SG_SN_SN_SP_SP_SR_SG_SG_NSQ_INS5_IJiNS_17integral_constantIiLi128EEEEEELb0EEENSF_INS27_IiLi2EEEEEEEENS5_IJSU_SV_SW_SX_SY_SZ_S10_S11_S12_S13_S14_S15_S16_S17_S18_NST_IJLi19EEEES1G_NST_IJLi20EEEEEEENS5_IJS1A_SZ_S10_S11_S12_S1B_S1C_S1D_S1E_S15_S16_S18_S17_S1F_S1G_NST_IJLi22EEEENST_IJLi23ELi24EEEENST_IJLi25EEEEEEENST_IJLi22ELi23ELi24ELi25EEEElEENSB_INS5_IJSR_SP_SP_SR_SG_SG_S2A_S2C_EEENS5_IJSU_SV_SW_SY_SX_SZ_S11_S10_EEENS5_IJS1M_SX_SY_S1N_S11_S12_NST_IJLi9ELi10EEEENST_IJLi11EEEEEEENST_IJLi8ELi9ELi10ELi11EEEElEENS5_IJNSB_INS5_IJSK_SP_SP_NSQ_INS5_IJiS2B_NS27_IiLi64EEEEEELb0EEES2W_EEENS5_IJSU_SV_SW_SX_SY_EEENS5_IJS1M_SX_SY_NST_IJLi5ELi6ELi7EEEENST_IJLi8ELi9ELi10EEEEEEENST_IJLi5ELi6ELi7ELi8ELi9ELi10EEEElEEEEES33_NS_31BlockToCTileMap_M00_N00_M01_N01ILi128ELi128ES1V_Lb0EEENS1_30ComputePtrOffsetOfStridedBatchILi1ELi1ELi1EvEELb0ELb0EEEvPKT0_S3B_T1_PT2_T3_T4_T5_iT6_T7_T8_T9_T10_T11_
	.p2align	8
	.type	_ZN2ck16tensor_operation6device12_GLOBAL__N_137kernel_grouped_conv_fwd_dl_multiple_dINS_32GridwiseGemmDlMultipleD_km_kn_mnILi256EDF16_fNS_5TupleIJDF16_EEEDF16_NS0_12element_wise11PassThroughES8_NS7_7AddReluELNS_25InMemoryDataOperationEnumE0ENS_16TensorDescriptorINS5_IJNS_5EmbedINS5_IJiiiiEEESD_Lb0EEENS_11PassThroughIiEENS_3PadIiiiLb0EEESI_SG_SG_NSC_INS5_IJiiEEESJ_Lb0EEESK_SG_NS_23Merge_v2_magic_divisionINS5_IJiiiEEEEESN_NS_8RightPadIiiLb0EEESP_NS_7UnMergeISJ_Lb0EEESG_EEENS5_IJNS_8SequenceIJLi0EEEENST_IJLi1EEEENST_IJLi2EEEENST_IJLi3EEEENST_IJLi4EEEENST_IJLi5EEEENST_IJLi6EEEENST_IJLi7EEEENST_IJLi8EEEENST_IJLi9ELi11ELi13EEEENST_IJLi10ELi12ELi14EEEENST_IJLi15EEEENST_IJLi16EEEENST_IJLi18EEEENST_IJLi17EEEEEEENS5_IJNST_IJLi1ELi2ELi3ELi4EEEESZ_S10_S11_S12_NST_IJLi9EEEENST_IJLi10ELi11EEEENST_IJLi12ELi13EEEENST_IJLi14EEEES15_S16_S18_S17_NST_IJLi19ELi20EEEENST_IJLi21EEEEEEENST_IJLi19ELi21ELi20EEEElEENSB_INS5_IJSR_SP_SP_SR_SG_EEENS5_IJSU_SV_SW_SY_SX_EEENS5_IJNST_IJLi1ELi2EEEESX_SY_NST_IJLi5ELi6EEEES11_EEENST_IJLi5ELi7ELi6EEEElEENSB_INS5_IJSK_SP_SP_EEENS5_IJSU_SV_SW_EEENS5_IJS1M_SX_SY_EEENST_IJLi3ELi4EEEElEELi128ELi128ELi16ELi2ELi4ELi4ELi1ENST_IJLi8ELi2EEEES1W_NST_IJLi8ELi1ELi1ELi2EEEENST_IJLi2ELi1ELi128ELi1EEEENST_IJLi1ELi2ELi0ELi3EEEES1Z_NST_IJLi4ELi1ELi1ELi2EEEES1Z_NST_IJLi1ELi1ELi1ELi2EEEES1X_S1Y_S1Z_S1Z_S20_S1Z_S21_NST_IJLi0ELi1ELi2ELi3ELi4ELi5EEEELi5ELi4EEEDF16_NS5_IJPKDF16_EEEDF16_S8_S8_S9_NSB_INS5_IJSE_SG_SI_SI_SG_SG_SK_SK_SG_SN_SN_SP_SP_SR_SG_SG_NSQ_INS5_IJiNS_17integral_constantIiLi128EEEEEELb0EEENSF_INS27_IiLi2EEEEEEEENS5_IJSU_SV_SW_SX_SY_SZ_S10_S11_S12_S13_S14_S15_S16_S17_S18_NST_IJLi19EEEES1G_NST_IJLi20EEEEEEENS5_IJS1A_SZ_S10_S11_S12_S1B_S1C_S1D_S1E_S15_S16_S18_S17_S1F_S1G_NST_IJLi22EEEENST_IJLi23ELi24EEEENST_IJLi25EEEEEEENST_IJLi22ELi23ELi24ELi25EEEElEENSB_INS5_IJSR_SP_SP_SR_SG_SG_S2A_S2C_EEENS5_IJSU_SV_SW_SY_SX_SZ_S11_S10_EEENS5_IJS1M_SX_SY_S1N_S11_S12_NST_IJLi9ELi10EEEENST_IJLi11EEEEEEENST_IJLi8ELi9ELi10ELi11EEEElEENS5_IJNSB_INS5_IJSK_SP_SP_NSQ_INS5_IJiS2B_NS27_IiLi64EEEEEELb0EEES2W_EEENS5_IJSU_SV_SW_SX_SY_EEENS5_IJS1M_SX_SY_NST_IJLi5ELi6ELi7EEEENST_IJLi8ELi9ELi10EEEEEEENST_IJLi5ELi6ELi7ELi8ELi9ELi10EEEElEEEEES33_NS_31BlockToCTileMap_M00_N00_M01_N01ILi128ELi128ES1V_Lb0EEENS1_30ComputePtrOffsetOfStridedBatchILi1ELi1ELi1EvEELb0ELb0EEEvPKT0_S3B_T1_PT2_T3_T4_T5_iT6_T7_T8_T9_T10_T11_,@function
_ZN2ck16tensor_operation6device12_GLOBAL__N_137kernel_grouped_conv_fwd_dl_multiple_dINS_32GridwiseGemmDlMultipleD_km_kn_mnILi256EDF16_fNS_5TupleIJDF16_EEEDF16_NS0_12element_wise11PassThroughES8_NS7_7AddReluELNS_25InMemoryDataOperationEnumE0ENS_16TensorDescriptorINS5_IJNS_5EmbedINS5_IJiiiiEEESD_Lb0EEENS_11PassThroughIiEENS_3PadIiiiLb0EEESI_SG_SG_NSC_INS5_IJiiEEESJ_Lb0EEESK_SG_NS_23Merge_v2_magic_divisionINS5_IJiiiEEEEESN_NS_8RightPadIiiLb0EEESP_NS_7UnMergeISJ_Lb0EEESG_EEENS5_IJNS_8SequenceIJLi0EEEENST_IJLi1EEEENST_IJLi2EEEENST_IJLi3EEEENST_IJLi4EEEENST_IJLi5EEEENST_IJLi6EEEENST_IJLi7EEEENST_IJLi8EEEENST_IJLi9ELi11ELi13EEEENST_IJLi10ELi12ELi14EEEENST_IJLi15EEEENST_IJLi16EEEENST_IJLi18EEEENST_IJLi17EEEEEEENS5_IJNST_IJLi1ELi2ELi3ELi4EEEESZ_S10_S11_S12_NST_IJLi9EEEENST_IJLi10ELi11EEEENST_IJLi12ELi13EEEENST_IJLi14EEEES15_S16_S18_S17_NST_IJLi19ELi20EEEENST_IJLi21EEEEEEENST_IJLi19ELi21ELi20EEEElEENSB_INS5_IJSR_SP_SP_SR_SG_EEENS5_IJSU_SV_SW_SY_SX_EEENS5_IJNST_IJLi1ELi2EEEESX_SY_NST_IJLi5ELi6EEEES11_EEENST_IJLi5ELi7ELi6EEEElEENSB_INS5_IJSK_SP_SP_EEENS5_IJSU_SV_SW_EEENS5_IJS1M_SX_SY_EEENST_IJLi3ELi4EEEElEELi128ELi128ELi16ELi2ELi4ELi4ELi1ENST_IJLi8ELi2EEEES1W_NST_IJLi8ELi1ELi1ELi2EEEENST_IJLi2ELi1ELi128ELi1EEEENST_IJLi1ELi2ELi0ELi3EEEES1Z_NST_IJLi4ELi1ELi1ELi2EEEES1Z_NST_IJLi1ELi1ELi1ELi2EEEES1X_S1Y_S1Z_S1Z_S20_S1Z_S21_NST_IJLi0ELi1ELi2ELi3ELi4ELi5EEEELi5ELi4EEEDF16_NS5_IJPKDF16_EEEDF16_S8_S8_S9_NSB_INS5_IJSE_SG_SI_SI_SG_SG_SK_SK_SG_SN_SN_SP_SP_SR_SG_SG_NSQ_INS5_IJiNS_17integral_constantIiLi128EEEEEELb0EEENSF_INS27_IiLi2EEEEEEEENS5_IJSU_SV_SW_SX_SY_SZ_S10_S11_S12_S13_S14_S15_S16_S17_S18_NST_IJLi19EEEES1G_NST_IJLi20EEEEEEENS5_IJS1A_SZ_S10_S11_S12_S1B_S1C_S1D_S1E_S15_S16_S18_S17_S1F_S1G_NST_IJLi22EEEENST_IJLi23ELi24EEEENST_IJLi25EEEEEEENST_IJLi22ELi23ELi24ELi25EEEElEENSB_INS5_IJSR_SP_SP_SR_SG_SG_S2A_S2C_EEENS5_IJSU_SV_SW_SY_SX_SZ_S11_S10_EEENS5_IJS1M_SX_SY_S1N_S11_S12_NST_IJLi9ELi10EEEENST_IJLi11EEEEEEENST_IJLi8ELi9ELi10ELi11EEEElEENS5_IJNSB_INS5_IJSK_SP_SP_NSQ_INS5_IJiS2B_NS27_IiLi64EEEEEELb0EEES2W_EEENS5_IJSU_SV_SW_SX_SY_EEENS5_IJS1M_SX_SY_NST_IJLi5ELi6ELi7EEEENST_IJLi8ELi9ELi10EEEEEEENST_IJLi5ELi6ELi7ELi8ELi9ELi10EEEElEEEEES33_NS_31BlockToCTileMap_M00_N00_M01_N01ILi128ELi128ES1V_Lb0EEENS1_30ComputePtrOffsetOfStridedBatchILi1ELi1ELi1EvEELb0ELb0EEEvPKT0_S3B_T1_PT2_T3_T4_T5_iT6_T7_T8_T9_T10_T11_: ; @_ZN2ck16tensor_operation6device12_GLOBAL__N_137kernel_grouped_conv_fwd_dl_multiple_dINS_32GridwiseGemmDlMultipleD_km_kn_mnILi256EDF16_fNS_5TupleIJDF16_EEEDF16_NS0_12element_wise11PassThroughES8_NS7_7AddReluELNS_25InMemoryDataOperationEnumE0ENS_16TensorDescriptorINS5_IJNS_5EmbedINS5_IJiiiiEEESD_Lb0EEENS_11PassThroughIiEENS_3PadIiiiLb0EEESI_SG_SG_NSC_INS5_IJiiEEESJ_Lb0EEESK_SG_NS_23Merge_v2_magic_divisionINS5_IJiiiEEEEESN_NS_8RightPadIiiLb0EEESP_NS_7UnMergeISJ_Lb0EEESG_EEENS5_IJNS_8SequenceIJLi0EEEENST_IJLi1EEEENST_IJLi2EEEENST_IJLi3EEEENST_IJLi4EEEENST_IJLi5EEEENST_IJLi6EEEENST_IJLi7EEEENST_IJLi8EEEENST_IJLi9ELi11ELi13EEEENST_IJLi10ELi12ELi14EEEENST_IJLi15EEEENST_IJLi16EEEENST_IJLi18EEEENST_IJLi17EEEEEEENS5_IJNST_IJLi1ELi2ELi3ELi4EEEESZ_S10_S11_S12_NST_IJLi9EEEENST_IJLi10ELi11EEEENST_IJLi12ELi13EEEENST_IJLi14EEEES15_S16_S18_S17_NST_IJLi19ELi20EEEENST_IJLi21EEEEEEENST_IJLi19ELi21ELi20EEEElEENSB_INS5_IJSR_SP_SP_SR_SG_EEENS5_IJSU_SV_SW_SY_SX_EEENS5_IJNST_IJLi1ELi2EEEESX_SY_NST_IJLi5ELi6EEEES11_EEENST_IJLi5ELi7ELi6EEEElEENSB_INS5_IJSK_SP_SP_EEENS5_IJSU_SV_SW_EEENS5_IJS1M_SX_SY_EEENST_IJLi3ELi4EEEElEELi128ELi128ELi16ELi2ELi4ELi4ELi1ENST_IJLi8ELi2EEEES1W_NST_IJLi8ELi1ELi1ELi2EEEENST_IJLi2ELi1ELi128ELi1EEEENST_IJLi1ELi2ELi0ELi3EEEES1Z_NST_IJLi4ELi1ELi1ELi2EEEES1Z_NST_IJLi1ELi1ELi1ELi2EEEES1X_S1Y_S1Z_S1Z_S20_S1Z_S21_NST_IJLi0ELi1ELi2ELi3ELi4ELi5EEEELi5ELi4EEEDF16_NS5_IJPKDF16_EEEDF16_S8_S8_S9_NSB_INS5_IJSE_SG_SI_SI_SG_SG_SK_SK_SG_SN_SN_SP_SP_SR_SG_SG_NSQ_INS5_IJiNS_17integral_constantIiLi128EEEEEELb0EEENSF_INS27_IiLi2EEEEEEEENS5_IJSU_SV_SW_SX_SY_SZ_S10_S11_S12_S13_S14_S15_S16_S17_S18_NST_IJLi19EEEES1G_NST_IJLi20EEEEEEENS5_IJS1A_SZ_S10_S11_S12_S1B_S1C_S1D_S1E_S15_S16_S18_S17_S1F_S1G_NST_IJLi22EEEENST_IJLi23ELi24EEEENST_IJLi25EEEEEEENST_IJLi22ELi23ELi24ELi25EEEElEENSB_INS5_IJSR_SP_SP_SR_SG_SG_S2A_S2C_EEENS5_IJSU_SV_SW_SY_SX_SZ_S11_S10_EEENS5_IJS1M_SX_SY_S1N_S11_S12_NST_IJLi9ELi10EEEENST_IJLi11EEEEEEENST_IJLi8ELi9ELi10ELi11EEEElEENS5_IJNSB_INS5_IJSK_SP_SP_NSQ_INS5_IJiS2B_NS27_IiLi64EEEEEELb0EEES2W_EEENS5_IJSU_SV_SW_SX_SY_EEENS5_IJS1M_SX_SY_NST_IJLi5ELi6ELi7EEEENST_IJLi8ELi9ELi10EEEEEEENST_IJLi5ELi6ELi7ELi8ELi9ELi10EEEElEEEEES33_NS_31BlockToCTileMap_M00_N00_M01_N01ILi128ELi128ES1V_Lb0EEENS1_30ComputePtrOffsetOfStridedBatchILi1ELi1ELi1EvEELb0ELb0EEEvPKT0_S3B_T1_PT2_T3_T4_T5_iT6_T7_T8_T9_T10_T11_
; %bb.0:
	s_clause 0x3
	s_load_b32 s2, s[0:1], 0x24
	s_load_b128 s[24:27], s[0:1], 0x38
	s_load_b32 s4, s[0:1], 0x2c8
	s_load_b128 s[36:39], s[0:1], 0x288
	v_lshrrev_b32_e32 v28, 1, v0
	v_dual_mov_b32 v49, 0 :: v_dual_lshlrev_b32 v22, 1, v0
	v_lshrrev_b32_e32 v61, 5, v0
	v_mov_b32_e32 v73, 0
	v_dual_mov_b32 v41, 0 :: v_dual_mov_b32 v56, 0
	s_delay_alu instid0(VALU_DEP_4) | instskip(NEXT) | instid1(VALU_DEP_4)
	v_and_b32_e32 v23, 0x1f8, v22
	v_dual_mov_b32 v57, 0 :: v_dual_lshlrev_b32 v80, 6, v61
	v_dual_mov_b32 v52, 0 :: v_dual_mov_b32 v35, 0
	v_dual_mov_b32 v76, 0 :: v_dual_mov_b32 v37, 0
	;; [unrolled: 1-line block ×3, first 2 shown]
	v_mov_b32_e32 v74, 0
	s_waitcnt lgkmcnt(0)
	s_abs_i32 s3, s2
	s_abs_i32 s7, s4
	v_cvt_f32_u32_e32 v1, s3
	s_sub_i32 s6, 0, s3
	s_xor_b32 s2, s4, s2
	v_dual_mov_b32 v27, 0 :: v_dual_mov_b32 v42, 0
	s_delay_alu instid0(VALU_DEP_2)
	v_rcp_iflag_f32_e32 v1, v1
	s_ashr_i32 s2, s2, 31
	v_dual_mov_b32 v29, 0 :: v_dual_mov_b32 v68, 0
	v_dual_mov_b32 v79, 0 :: v_dual_mov_b32 v36, 0
	;; [unrolled: 1-line block ×4, first 2 shown]
	s_waitcnt_depctr 0xfff
	v_mul_f32_e32 v1, 0x4f7ffffe, v1
	v_dual_mov_b32 v43, 0 :: v_dual_mov_b32 v34, 0
	v_dual_mov_b32 v71, 0 :: v_dual_mov_b32 v58, 0
	s_delay_alu instid0(VALU_DEP_3) | instskip(SKIP_3) | instid1(VALU_DEP_4)
	v_cvt_u32_f32_e32 v1, v1
	v_mov_b32_e32 v65, 0
	v_dual_mov_b32 v33, 0 :: v_dual_mov_b32 v54, 0
	v_dual_mov_b32 v59, 0 :: v_dual_mov_b32 v20, 0
	v_readfirstlane_b32 s5, v1
	v_dual_mov_b32 v17, 0 :: v_dual_mov_b32 v50, 0
	v_dual_mov_b32 v55, 0 :: v_dual_mov_b32 v26, 0
	s_delay_alu instid0(VALU_DEP_3)
	s_mul_i32 s6, s6, s5
	v_dual_mov_b32 v21, 0 :: v_dual_mov_b32 v48, 0
	s_mul_hi_u32 s6, s5, s6
	v_dual_mov_b32 v51, 0 :: v_dual_mov_b32 v30, 0
	s_add_i32 s5, s5, s6
	v_dual_mov_b32 v25, 0 :: v_dual_mov_b32 v72, 0
	s_mul_hi_u32 s5, s7, s5
	v_dual_mov_b32 v31, 0 :: v_dual_mov_b32 v18, 0
	s_mul_i32 s4, s5, s3
	s_add_i32 s6, s5, 1
	s_sub_i32 s4, s7, s4
	v_dual_mov_b32 v19, 0 :: v_dual_mov_b32 v66, 0
	s_sub_i32 s7, s4, s3
	s_cmp_ge_u32 s4, s3
	v_mov_b32_e32 v67, 0
	s_cselect_b32 s5, s6, s5
	s_cselect_b32 s4, s7, s4
	s_add_i32 s6, s5, 1
	s_cmp_ge_u32 s4, s3
	v_mov_b32_e32 v24, 0
	s_cselect_b32 s3, s6, s5
	s_abs_i32 s28, s15
	s_xor_b32 s3, s3, s2
	s_load_b256 s[4:11], s[0:1], 0x0
	s_sub_i32 s12, s3, s2
	s_clause 0x2
	s_load_b64 s[2:3], s[0:1], 0xbc
	s_load_b64 s[44:45], s[0:1], 0xc8
	;; [unrolled: 1-line block ×3, first 2 shown]
	s_abs_i32 s13, s12
	s_xor_b32 s12, s15, s12
	v_cvt_f32_u32_e32 v1, s13
	s_sub_i32 s14, 0, s13
	s_ashr_i32 s12, s12, 31
	v_dual_mov_b32 v69, 0 :: v_dual_mov_b32 v70, 0
	s_delay_alu instid0(VALU_DEP_2)
	v_rcp_iflag_f32_e32 v1, v1
	v_mov_b32_e32 v46, 0
	v_mov_b32_e32 v62, 0
	;; [unrolled: 1-line block ×3, first 2 shown]
	v_dual_mov_b32 v40, 0 :: v_dual_mov_b32 v47, 0
	s_waitcnt_depctr 0xfff
	v_mul_f32_e32 v1, 0x4f7ffffe, v1
	s_delay_alu instid0(VALU_DEP_1) | instskip(NEXT) | instid1(VALU_DEP_1)
	v_cvt_u32_f32_e32 v1, v1
	v_readfirstlane_b32 s16, v1
	v_lshlrev_b32_e32 v1, 3, v0
	v_lshlrev_b32_e32 v0, 2, v0
	s_delay_alu instid0(VALU_DEP_3)
	s_mul_i32 s17, s14, s16
	s_clause 0x5
	s_load_b32 s14, s[0:1], 0x100
	s_load_b32 s48, s[0:1], 0x128
	;; [unrolled: 1-line block ×6, first 2 shown]
	s_mul_hi_u32 s17, s16, s17
	v_and_b32_e32 v32, 8, v1
	s_add_i32 s29, s16, s17
	s_load_b256 s[16:23], s[0:1], 0x2a0
	s_mul_hi_u32 s29, s28, s29
	s_delay_alu instid0(SALU_CYCLE_1)
	s_mul_i32 s30, s29, s13
	v_or_b32_e32 v2, 4, v32
	s_sub_i32 s28, s28, s30
	s_add_i32 s30, s29, 1
	s_sub_i32 s31, s28, s13
	s_cmp_ge_u32 s28, s13
	s_cselect_b32 s29, s30, s29
	s_cselect_b32 s28, s31, s28
	s_add_i32 s30, s29, 1
	s_cmp_ge_u32 s28, s13
	s_waitcnt lgkmcnt(0)
	v_mul_lo_u32 v39, s14, v32
	s_cselect_b32 s13, s30, s29
	s_clause 0x1
	s_load_b128 s[28:31], s[0:1], 0x260
	s_load_b128 s[40:43], s[0:1], 0x274
	s_xor_b32 s13, s13, s12
	v_mul_lo_u32 v77, s14, v2
	s_sub_i32 s33, s13, s12
	v_mul_lo_u32 v13, s49, v32
	s_ashr_i32 s13, s33, 31
	s_mul_hi_u32 s51, s16, s33
	s_mul_i32 s12, s16, s33
	s_mul_hi_u32 s53, s18, s33
	s_mul_hi_u32 s55, s20, s33
	s_mul_i32 s16, s16, s13
	s_mul_i32 s56, s18, s13
	;; [unrolled: 1-line block ×6, first 2 shown]
	s_add_i32 s20, s53, s56
	s_add_i32 s53, s55, s13
	s_mul_hi_u32 s54, s22, s33
	s_mul_i32 s17, s17, s33
	s_add_i32 s16, s51, s16
	s_add_i32 s53, s53, s21
	s_mul_i32 s19, s19, s33
	s_mul_i32 s23, s23, s33
	s_add_i32 s51, s54, s57
	s_add_i32 s13, s16, s17
	s_lshl_b64 s[16:17], s[52:53], 1
	s_add_i32 s19, s20, s19
	s_add_i32 s21, s51, s23
	s_add_u32 s16, s8, s16
	s_addc_u32 s17, s9, s17
	s_lshl_b64 s[8:9], s[12:13], 1
	s_mul_i32 s18, s18, s33
	s_add_u32 s8, s4, s8
	s_addc_u32 s9, s5, s9
	s_lshl_b64 s[4:5], s[18:19], 1
	s_mul_i32 s20, s22, s33
	s_add_u32 s4, s6, s4
	s_addc_u32 s5, s7, s5
	s_lshl_b64 s[6:7], s[20:21], 1
	s_waitcnt lgkmcnt(0)
	s_mul_hi_u32 s18, s43, s15
	s_add_u32 s12, s10, s6
	s_addc_u32 s13, s11, s7
	s_add_i32 s6, s15, s18
	s_clause 0x1
	s_load_b32 s11, s[0:1], 0x244
	s_load_b32 s52, s[0:1], 0x254
	s_lshr_b32 s10, s6, s39
	v_mul_hi_u32 v1, v39, s45
	s_mul_hi_u32 s6, s10, s42
	s_delay_alu instid0(SALU_CYCLE_1) | instskip(SKIP_2) | instid1(SALU_CYCLE_1)
	s_add_i32 s18, s10, s6
	s_load_b64 s[6:7], s[0:1], 0xa0
	s_lshr_b32 s51, s18, s38
	s_mul_hi_u32 s18, s51, s41
	s_delay_alu instid0(VALU_DEP_1)
	v_add_nc_u32_e32 v1, v39, v1
	s_add_i32 s14, s51, s18
	s_mul_i32 s18, s51, s30
	s_lshr_b32 s53, s14, s37
	s_sub_i32 s18, s10, s18
	s_mul_hi_u32 s14, s53, s40
	v_lshrrev_b32_e32 v4, s35, v1
	s_add_i32 s14, s53, s14
	v_mul_hi_u32 v1, v77, s45
	s_lshr_b32 s14, s14, s36
	s_load_b64 s[36:37], s[0:1], 0xac
	s_mul_i32 s14, s14, s28
	v_mul_hi_u32 v2, v4, s44
	s_sub_i32 s14, s53, s14
	s_clause 0x2
	s_load_b64 s[38:39], s[0:1], 0x74
	s_load_b64 s[40:41], s[0:1], 0x84
	;; [unrolled: 1-line block ×3, first 2 shown]
	s_waitcnt lgkmcnt(0)
	s_mul_i32 s14, s14, s11
	v_add_nc_u32_e32 v1, v77, v1
	s_add_i32 s18, s18, s14
	s_mul_i32 s53, s53, s29
	s_lshl_b32 s33, s18, 7
	s_clause 0x1
	s_load_b128 s[20:23], s[0:1], 0x4c
	s_load_b64 s[18:19], s[0:1], 0x5c
	v_or_b32_e32 v78, s33, v28
	v_lshrrev_b32_e32 v6, s35, v1
	v_add_nc_u32_e32 v1, v4, v2
	v_mul_lo_u32 v2, v4, s3
	s_mul_i32 s10, s10, s31
	v_mul_hi_u32 v3, v78, s7
	v_mul_hi_u32 v5, v6, s44
	v_lshrrev_b32_e32 v7, s34, v1
	s_mov_b32 s11, 0x31004000
	s_delay_alu instid0(SALU_CYCLE_1) | instskip(NEXT) | instid1(VALU_DEP_4)
	s_mov_b32 s7, s11
	v_sub_nc_u32_e32 v1, v39, v2
	s_delay_alu instid0(VALU_DEP_2) | instskip(SKIP_2) | instid1(VALU_DEP_2)
	v_mul_lo_u32 v8, v7, s2
	v_add_nc_u32_e32 v2, v78, v3
	v_add_nc_u32_e32 v5, v6, v5
	v_lshrrev_b32_e32 v9, s37, v2
	v_mad_u64_u32 v[2:3], null, v6, s3, v[1:2]
	v_sub_nc_u32_e32 v3, v4, v8
	s_delay_alu instid0(VALU_DEP_4) | instskip(NEXT) | instid1(VALU_DEP_4)
	v_lshrrev_b32_e32 v10, s34, v5
	v_mul_hi_u32 v8, v9, s6
	s_sub_i32 s6, s15, s10
	s_clause 0x4
	s_load_b32 s3, s[0:1], 0x188
	s_load_b64 s[34:35], s[0:1], 0x198
	s_load_b32 s14, s[0:1], 0x1a4
	s_load_b32 s28, s[0:1], 0x1b0
	s_load_b32 s30, s[0:1], 0x1d8
	v_mul_lo_u32 v1, v1, s27
	v_mad_u64_u32 v[4:5], null, v10, s2, v[3:4]
	v_sub_nc_u32_e32 v11, v10, v7
	v_mul_lo_u32 v5, v7, s38
	v_add_nc_u32_e32 v8, v9, v8
	v_sub_nc_u32_e32 v7, v77, v2
	v_mul_lo_u32 v2, v3, s40
	s_sub_i32 s2, s51, s53
	v_sub_nc_u32_e32 v3, v6, v4
	v_lshrrev_b32_e32 v8, s36, v8
	v_mul_lo_u32 v4, v9, s43
	s_mul_i32 s2, s2, s52
	v_mul_lo_u32 v88, v11, s38
	v_mul_lo_u32 v89, v3, s40
	v_mul_lo_u32 v6, v8, s42
	s_add_i32 s6, s6, s2
	v_mul_lo_u32 v8, v8, s24
	s_lshl_b32 s29, s6, 7
	v_sub_nc_u32_e32 v3, v78, v4
	v_or_b32_e32 v90, s29, v28
	v_mul_lo_u32 v10, v88, s25
	v_mul_lo_u32 v11, v89, s26
	v_sub_nc_u32_e32 v4, v9, v6
	v_mad_u64_u32 v[14:15], null, v3, s41, v[2:3]
	v_mul_lo_u32 v9, v7, s27
	s_lshl_b32 s2, s49, 2
	s_delay_alu instid0(VALU_DEP_3) | instskip(SKIP_3) | instid1(VALU_DEP_3)
	v_mad_u64_u32 v[15:16], null, v4, s39, v[5:6]
	s_waitcnt lgkmcnt(0)
	s_lshl_b32 s6, s3, 1
	s_lshl_b32 s10, s48, 1
	v_mad_u64_u32 v[2:3], null, v90, s50, v[13:14]
	v_subrev_nc_u32_e32 v3, s18, v14
	v_add3_u32 v9, v10, v9, v11
	s_delay_alu instid0(VALU_DEP_4) | instskip(NEXT) | instid1(VALU_DEP_3)
	v_subrev_nc_u32_e32 v4, s21, v15
	v_mad_u64_u32 v[5:6], null, v3, s26, v[1:2]
	s_delay_alu instid0(VALU_DEP_2)
	v_mul_lo_u32 v6, v4, s25
	v_lshlrev_b32_e32 v7, 1, v2
	v_add_lshl_u32 v12, v2, s2, 1
	buffer_load_b128 v[1:4], v7, s[4:7], 0 offen
	v_add3_u32 v16, v5, v8, v6
	buffer_load_b128 v[5:8], v12, s[4:7], 0 offen
	s_sub_i32 s7, s23, s19
	v_cmp_gt_i32_e64 s5, s46, v90
	v_lshlrev_b32_e32 v10, 1, v16
	v_add_lshl_u32 v16, v9, v16, 1
	s_clause 0x1
	buffer_load_b128 v[9:12], v10, s[8:11], 0 offen
	buffer_load_b128 v[84:87], v16, s[8:11], 0 offen
	s_clause 0x5
	s_load_b32 s6, s[0:1], 0xe4
	s_load_b32 s3, s[0:1], 0xf0
	s_load_b64 s[24:25], s[0:1], 0x1e8
	s_load_b32 s10, s[0:1], 0x1f4
	s_load_b32 s26, s[0:1], 0x200
	;; [unrolled: 1-line block ×3, first 2 shown]
	v_cmp_gt_i32_e64 s1, s47, v13
	v_add_nc_u32_e32 v13, s2, v13
	v_cmp_le_i32_e64 s2, s18, v14
	s_sub_i32 s9, s20, s22
	v_mov_b32_e32 v16, 0
	v_cmp_gt_i32_e64 s8, s9, v15
	v_cmp_gt_i32_e64 s4, s47, v13
	v_add_nc_u32_e32 v13, v15, v88
	s_delay_alu instid0(VALU_DEP_1)
	v_cmp_gt_i32_e64 s9, s9, v13
	s_waitcnt lgkmcnt(0)
	v_cmp_gt_i32_e64 s6, s6, v78
	v_cmp_gt_i32_e32 vcc_lo, s3, v39
	v_cmp_gt_i32_e64 s0, s3, v77
	v_cmp_gt_i32_e64 s3, s7, v14
	v_add_nc_u32_e32 v14, v14, v89
	v_mov_b32_e32 v78, 0
	s_delay_alu instid0(VALU_DEP_3) | instskip(NEXT) | instid1(VALU_DEP_2)
	s_and_b32 s19, s2, s3
	v_cmp_le_i32_e64 s2, s18, v14
	v_cmp_gt_i32_e64 s3, s7, v14
	v_cmp_le_i32_e64 s7, s21, v15
	s_and_b32 s18, vcc_lo, s19
	v_cmp_le_i32_e32 vcc_lo, s21, v13
	s_mov_b32 s19, s11
	s_and_b32 s2, s2, s3
	s_and_b32 s3, s7, s8
	;; [unrolled: 1-line block ×4, first 2 shown]
	s_and_b32 s3, vcc_lo, s9
	s_and_b32 vcc_lo, s1, s5
	v_and_b32_e32 v63, 0x1fc, v22
	v_dual_mov_b32 v28, 0 :: v_dual_lshlrev_b32 v91, 2, v28
	v_sub_nc_u32_e32 v80, v23, v80
	s_and_b32 s0, s0, s3
	v_mov_b32_e32 v22, 0
	s_lshl_b32 s18, s30, 1
	s_waitcnt vmcnt(3)
	v_cndmask_b32_e32 v2, 0, v2, vcc_lo
	v_cndmask_b32_e32 v4, 0, v4, vcc_lo
	v_sub_nc_u32_e32 v81, v63, v23
	v_mov_b32_e32 v23, 0
	v_and_or_b32 v82, v0, 4, v80
	v_lshl_or_b32 v0, v32, 9, v91
	v_cndmask_b32_e32 v3, 0, v3, vcc_lo
	v_lshl_add_u32 v83, v61, 3, v81
	v_cndmask_b32_e32 v1, 0, v1, vcc_lo
	s_and_b32 vcc_lo, s4, s5
	s_waitcnt vmcnt(2)
	v_dual_mov_b32 v61, 0 :: v_dual_cndmask_b32 v8, 0, v8
	v_dual_cndmask_b32 v6, 0, v6 :: v_dual_cndmask_b32 v5, 0, v5
	v_dual_mov_b32 v32, 0 :: v_dual_cndmask_b32 v7, 0, v7
	s_and_b32 vcc_lo, s6, s2
	v_dual_mov_b32 v63, 0 :: v_dual_lshlrev_b32 v80, 2, v83
	v_lshlrev_b32_e32 v81, 2, v82
	ds_store_2addr_stride64_b32 v0, v1, v2 offset0:64 offset1:66
	ds_store_2addr_stride64_b32 v0, v3, v4 offset0:68 offset1:70
	;; [unrolled: 1-line block ×3, first 2 shown]
	s_waitcnt vmcnt(1)
	v_dual_cndmask_b32 v2, 0, v11 :: v_dual_cndmask_b32 v1, 0, v12
	v_dual_cndmask_b32 v3, 0, v10 :: v_dual_cndmask_b32 v4, 0, v9
	s_and_b32 vcc_lo, s6, s0
	s_lshl_b32 s0, s35, 6
	s_waitcnt vmcnt(0)
	v_dual_cndmask_b32 v6, 0, v85 :: v_dual_cndmask_b32 v9, 0, v84
	v_dual_cndmask_b32 v5, 0, v87 :: v_dual_cndmask_b32 v10, 0, v86
	ds_store_2addr_stride64_b32 v0, v7, v8 offset0:76 offset1:78
	ds_store_2addr_stride64_b32 v0, v4, v3 offset1:2
	ds_store_2addr_stride64_b32 v0, v2, v1 offset0:4 offset1:6
	ds_store_2addr_stride64_b32 v0, v9, v6 offset0:8 offset1:10
	;; [unrolled: 1-line block ×3, first 2 shown]
	s_waitcnt lgkmcnt(0)
	s_barrier
	buffer_gl0_inv
	ds_load_b128 v[0:3], v80
	ds_load_b128 v[4:7], v81 offset:16384
	ds_load_b128 v[8:11], v81 offset:16640
	;; [unrolled: 1-line block ×16, first 2 shown]
	v_mov_b32_e32 v77, 0
	v_mov_b32_e32 v39, 0
	s_add_i32 s4, s25, s24
	s_waitcnt lgkmcnt(13)
	v_dual_dot2acc_f32_f16 v73, v12, v8 :: v_dual_add_nc_u32 v82, s29, v82
	v_dot2acc_f32_f16 v32, v14, v11
	v_dot2acc_f32_f16 v72, v12, v9
	v_dot2acc_f32_f16 v18, v12, v10
	v_dual_dot2acc_f32_f16 v19, v12, v11 :: v_dual_dot2acc_f32_f16 v78, v15, v9
	v_dual_dot2acc_f32_f16 v67, v13, v8 :: v_dual_dot2acc_f32_f16 v24, v15, v11
	v_dot2acc_f32_f16 v66, v13, v9
	v_dot2acc_f32_f16 v22, v13, v10
	v_dual_dot2acc_f32_f16 v28, v14, v10 :: v_dual_dot2acc_f32_f16 v79, v0, v8
	v_dual_dot2acc_f32_f16 v38, v2, v11 :: v_dual_dot2acc_f32_f16 v69, v0, v4
	v_dot2acc_f32_f16 v74, v1, v9
	v_dot2acc_f32_f16 v70, v0, v5
	;; [unrolled: 1-line block ×3, first 2 shown]
	v_dual_dot2acc_f32_f16 v47, v0, v7 :: v_dual_dot2acc_f32_f16 v56, v2, v4
	v_dot2acc_f32_f16 v62, v1, v4
	v_dot2acc_f32_f16 v64, v1, v5
	;; [unrolled: 1-line block ×3, first 2 shown]
	v_dual_dot2acc_f32_f16 v41, v1, v7 :: v_dual_dot2acc_f32_f16 v52, v3, v4
	v_dual_dot2acc_f32_f16 v57, v2, v5 :: v_dual_dot2acc_f32_f16 v44, v0, v10
	;; [unrolled: 1-line block ×16, first 2 shown]
	v_dot2acc_f32_f16 v21, v13, v7
	v_dot2acc_f32_f16 v51, v14, v5
	;; [unrolled: 1-line block ×5, first 2 shown]
	s_waitcnt lgkmcnt(10)
	v_dual_dot2acc_f32_f16 v23, v13, v11 :: v_dual_dot2acc_f32_f16 v70, v92, v85
	v_dual_dot2acc_f32_f16 v63, v14, v8 :: v_dual_dot2acc_f32_f16 v46, v92, v86
	;; [unrolled: 1-line block ×5, first 2 shown]
	ds_load_b128 v[0:3], v81 offset:18432
	ds_load_b128 v[4:7], v81 offset:18688
	ds_load_b128 v[8:11], v80 offset:2304
	ds_load_b128 v[12:15], v80 offset:2560
	v_dual_dot2acc_f32_f16 v69, v92, v84 :: v_dual_dot2acc_f32_f16 v40, v93, v86
	v_dual_dot2acc_f32_f16 v47, v92, v87 :: v_dual_dot2acc_f32_f16 v52, v95, v84
	v_dual_dot2acc_f32_f16 v41, v93, v87 :: v_dual_dot2acc_f32_f16 v76, v92, v89
	v_dual_dot2acc_f32_f16 v57, v94, v85 :: v_dual_dot2acc_f32_f16 v44, v92, v90
	v_dual_dot2acc_f32_f16 v35, v94, v86 :: v_dual_dot2acc_f32_f16 v74, v93, v89
	v_dual_dot2acc_f32_f16 v37, v94, v87 :: v_dual_dot2acc_f32_f16 v42, v93, v90
	v_dual_dot2acc_f32_f16 v53, v95, v85 :: v_dual_dot2acc_f32_f16 v36, v94, v90
	v_dual_dot2acc_f32_f16 v27, v95, v86 :: v_dual_dot2acc_f32_f16 v68, v94, v89
	s_waitcnt lgkmcnt(13)
	v_dual_dot2acc_f32_f16 v29, v95, v87 :: v_dual_dot2acc_f32_f16 v58, v96, v84
	v_dual_dot2acc_f32_f16 v79, v92, v88 :: v_dual_dot2acc_f32_f16 v38, v94, v91
	v_dual_dot2acc_f32_f16 v45, v92, v91 :: v_dual_dot2acc_f32_f16 v60, v95, v89
	v_dual_dot2acc_f32_f16 v75, v93, v88 :: v_dual_dot2acc_f32_f16 v34, v95, v91
	v_dual_dot2acc_f32_f16 v43, v93, v91 :: v_dual_dot2acc_f32_f16 v16, v96, v86
	v_dual_dot2acc_f32_f16 v71, v94, v88 :: v_dual_dot2acc_f32_f16 v54, v97, v85
	v_dual_dot2acc_f32_f16 v65, v95, v88 :: v_dual_dot2acc_f32_f16 v20, v97, v86
	v_dual_dot2acc_f32_f16 v33, v95, v90 :: v_dual_dot2acc_f32_f16 v50, v98, v84
	v_dual_dot2acc_f32_f16 v59, v96, v85 :: v_dual_dot2acc_f32_f16 v26, v98, v87
	v_dual_dot2acc_f32_f16 v17, v96, v87 :: v_dual_dot2acc_f32_f16 v48, v99, v85
	v_dual_dot2acc_f32_f16 v55, v97, v84 :: v_dual_dot2acc_f32_f16 v30, v99, v86
	v_dual_dot2acc_f32_f16 v21, v97, v87 :: v_dual_dot2acc_f32_f16 v72, v96, v89
	v_dual_dot2acc_f32_f16 v51, v98, v85 :: v_dual_dot2acc_f32_f16 v18, v96, v90
	v_dual_dot2acc_f32_f16 v25, v98, v86 :: v_dual_dot2acc_f32_f16 v66, v97, v89
	v_dual_dot2acc_f32_f16 v49, v99, v84 :: v_dual_dot2acc_f32_f16 v22, v97, v90
	v_dual_dot2acc_f32_f16 v31, v99, v87 :: v_dual_dot2acc_f32_f16 v28, v98, v90
	v_dual_dot2acc_f32_f16 v73, v96, v88 :: v_dual_dot2acc_f32_f16 v32, v98, v91
	v_dual_dot2acc_f32_f16 v19, v96, v91 :: v_dual_dot2acc_f32_f16 v78, v99, v89
	v_dual_dot2acc_f32_f16 v67, v97, v88 :: v_dual_dot2acc_f32_f16 v24, v99, v91
	s_waitcnt lgkmcnt(10)
	v_dual_dot2acc_f32_f16 v23, v97, v91 :: v_dual_dot2acc_f32_f16 v70, v108, v101
	v_dual_dot2acc_f32_f16 v63, v98, v88 :: v_dual_dot2acc_f32_f16 v46, v108, v102
	v_dual_dot2acc_f32_f16 v61, v98, v89 :: v_dual_dot2acc_f32_f16 v62, v109, v100
	v_dual_dot2acc_f32_f16 v77, v99, v88 :: v_dual_dot2acc_f32_f16 v64, v109, v101
	v_dual_dot2acc_f32_f16 v39, v99, v90 :: v_dual_dot2acc_f32_f16 v56, v110, v100
	v_dual_dot2acc_f32_f16 v69, v108, v100 :: v_dual_dot2acc_f32_f16 v40, v109, v102
	v_dual_dot2acc_f32_f16 v47, v108, v103 :: v_dual_dot2acc_f32_f16 v52, v111, v100
	v_dual_dot2acc_f32_f16 v41, v109, v103 :: v_dual_dot2acc_f32_f16 v76, v108, v105
	v_dual_dot2acc_f32_f16 v57, v110, v101 :: v_dual_dot2acc_f32_f16 v44, v108, v106
	v_dual_dot2acc_f32_f16 v35, v110, v102 :: v_dual_dot2acc_f32_f16 v74, v109, v105
	v_dual_dot2acc_f32_f16 v37, v110, v103 :: v_dual_dot2acc_f32_f16 v42, v109, v106
	v_dual_dot2acc_f32_f16 v53, v111, v101 :: v_dual_dot2acc_f32_f16 v36, v110, v106
	v_dual_dot2acc_f32_f16 v27, v111, v102 :: v_dual_dot2acc_f32_f16 v68, v110, v105
	s_waitcnt lgkmcnt(9)
	v_dual_dot2acc_f32_f16 v29, v111, v103 :: v_dual_dot2acc_f32_f16 v58, v112, v100
	v_dual_dot2acc_f32_f16 v79, v108, v104 :: v_dual_dot2acc_f32_f16 v38, v110, v107
	v_dual_dot2acc_f32_f16 v45, v108, v107 :: v_dual_dot2acc_f32_f16 v60, v111, v105
	v_dual_dot2acc_f32_f16 v75, v109, v104 :: v_dual_dot2acc_f32_f16 v34, v111, v107
	v_dual_dot2acc_f32_f16 v43, v109, v107 :: v_dual_dot2acc_f32_f16 v16, v112, v102
	v_dual_dot2acc_f32_f16 v71, v110, v104 :: v_dual_dot2acc_f32_f16 v54, v113, v101
	v_dual_dot2acc_f32_f16 v65, v111, v104 :: v_dual_dot2acc_f32_f16 v20, v113, v102
	v_dual_dot2acc_f32_f16 v33, v111, v106 :: v_dual_dot2acc_f32_f16 v50, v114, v100
	v_dual_dot2acc_f32_f16 v59, v112, v101 :: v_dual_dot2acc_f32_f16 v26, v114, v103
	v_dual_dot2acc_f32_f16 v17, v112, v103 :: v_dual_dot2acc_f32_f16 v48, v115, v101
	v_dual_dot2acc_f32_f16 v55, v113, v100 :: v_dual_dot2acc_f32_f16 v30, v115, v102
	v_dual_dot2acc_f32_f16 v21, v113, v103 :: v_dual_dot2acc_f32_f16 v72, v112, v105
	v_dual_dot2acc_f32_f16 v51, v114, v101 :: v_dual_dot2acc_f32_f16 v18, v112, v106
	v_dual_dot2acc_f32_f16 v25, v114, v102 :: v_dual_dot2acc_f32_f16 v66, v113, v105
	v_dual_dot2acc_f32_f16 v49, v115, v100 :: v_dual_dot2acc_f32_f16 v22, v113, v106
	v_dual_dot2acc_f32_f16 v31, v115, v103 :: v_dual_dot2acc_f32_f16 v28, v114, v106
	v_dual_dot2acc_f32_f16 v73, v112, v104 :: v_dual_dot2acc_f32_f16 v32, v114, v107
	v_dual_dot2acc_f32_f16 v19, v112, v107 :: v_dual_dot2acc_f32_f16 v78, v115, v105
	v_dual_dot2acc_f32_f16 v67, v113, v104 :: v_dual_dot2acc_f32_f16 v24, v115, v107
	s_waitcnt lgkmcnt(6)
	v_dual_dot2acc_f32_f16 v23, v113, v107 :: v_dual_dot2acc_f32_f16 v70, v124, v117
	v_dual_dot2acc_f32_f16 v63, v114, v104 :: v_dual_dot2acc_f32_f16 v46, v124, v118
	v_dual_dot2acc_f32_f16 v61, v114, v105 :: v_dual_dot2acc_f32_f16 v62, v125, v116
	v_dual_dot2acc_f32_f16 v77, v115, v104 :: v_dual_dot2acc_f32_f16 v64, v125, v117
	v_dual_dot2acc_f32_f16 v39, v115, v106 :: v_dual_dot2acc_f32_f16 v56, v126, v116
	;; [unrolled: 34-line block ×3, first 2 shown]
	v_dual_dot2acc_f32_f16 v69, v132, v0 :: v_dual_dot2acc_f32_f16 v40, v133, v2
	v_dual_dot2acc_f32_f16 v47, v132, v3 :: v_dual_dot2acc_f32_f16 v52, v135, v0
	s_waitcnt lgkmcnt(2)
	v_dual_dot2acc_f32_f16 v41, v133, v3 :: v_dual_dot2acc_f32_f16 v76, v132, v5
	v_dual_dot2acc_f32_f16 v57, v134, v1 :: v_dual_dot2acc_f32_f16 v44, v132, v6
	;; [unrolled: 1-line block ×6, first 2 shown]
	s_waitcnt lgkmcnt(1)
	v_dual_dot2acc_f32_f16 v29, v135, v3 :: v_dual_dot2acc_f32_f16 v58, v8, v0
	v_dual_dot2acc_f32_f16 v79, v132, v4 :: v_dual_dot2acc_f32_f16 v38, v134, v7
	;; [unrolled: 1-line block ×15, first 2 shown]
	ds_load_b128 v[84:87], v81 offset:18944
	v_dual_dot2acc_f32_f16 v31, v11, v3 :: v_dual_dot2acc_f32_f16 v28, v10, v6
	v_dual_dot2acc_f32_f16 v73, v8, v4 :: v_dual_dot2acc_f32_f16 v32, v10, v7
	;; [unrolled: 1-line block ×4, first 2 shown]
	ds_load_b128 v[0:3], v81 offset:19200
	v_dot2acc_f32_f16 v23, v9, v7
	v_dot2acc_f32_f16 v63, v10, v4
	;; [unrolled: 1-line block ×5, first 2 shown]
	ds_load_b128 v[4:7], v80 offset:2816
	ds_load_b128 v[8:11], v80 offset:3072
	;; [unrolled: 1-line block ×3, first 2 shown]
	v_cmp_gt_i32_e32 vcc_lo, s28, v82
	s_waitcnt lgkmcnt(4)
	v_dual_dot2acc_f32_f16 v69, v12, v84 :: v_dual_dot2acc_f32_f16 v40, v13, v86
	v_dot2acc_f32_f16 v70, v12, v85
	v_dot2acc_f32_f16 v46, v12, v86
	v_dual_dot2acc_f32_f16 v47, v12, v87 :: v_dual_dot2acc_f32_f16 v52, v15, v84
	v_dot2acc_f32_f16 v62, v13, v84
	v_dot2acc_f32_f16 v64, v13, v85
	s_waitcnt lgkmcnt(3)
	v_dual_dot2acc_f32_f16 v41, v13, v87 :: v_dual_dot2acc_f32_f16 v76, v12, v1
	v_dot2acc_f32_f16 v56, v14, v84
	v_dual_dot2acc_f32_f16 v57, v14, v85 :: v_dual_dot2acc_f32_f16 v44, v12, v2
	v_dual_dot2acc_f32_f16 v35, v14, v86 :: v_dual_dot2acc_f32_f16 v74, v13, v1
	;; [unrolled: 1-line block ×5, first 2 shown]
	s_waitcnt lgkmcnt(2)
	v_dual_dot2acc_f32_f16 v29, v15, v87 :: v_dual_dot2acc_f32_f16 v58, v4, v84
	v_dual_dot2acc_f32_f16 v79, v12, v0 :: v_dual_dot2acc_f32_f16 v38, v14, v3
	v_dual_dot2acc_f32_f16 v45, v12, v3 :: v_dual_dot2acc_f32_f16 v60, v15, v1
	v_dual_dot2acc_f32_f16 v75, v13, v0 :: v_dual_dot2acc_f32_f16 v34, v15, v3
	v_dual_dot2acc_f32_f16 v43, v13, v3 :: v_dual_dot2acc_f32_f16 v16, v4, v86
	v_dual_dot2acc_f32_f16 v71, v14, v0 :: v_dual_dot2acc_f32_f16 v54, v5, v85
	v_dual_dot2acc_f32_f16 v65, v15, v0 :: v_dual_dot2acc_f32_f16 v20, v5, v86
	v_dual_dot2acc_f32_f16 v33, v15, v2 :: v_dual_dot2acc_f32_f16 v50, v6, v84
	v_dual_dot2acc_f32_f16 v59, v4, v85 :: v_dual_dot2acc_f32_f16 v26, v6, v87
	v_dual_dot2acc_f32_f16 v17, v4, v87 :: v_dual_dot2acc_f32_f16 v48, v7, v85
	v_dual_dot2acc_f32_f16 v55, v5, v84 :: v_dual_dot2acc_f32_f16 v30, v7, v86
	v_dual_dot2acc_f32_f16 v21, v5, v87 :: v_dual_dot2acc_f32_f16 v72, v4, v1
	v_dual_dot2acc_f32_f16 v51, v6, v85 :: v_dual_dot2acc_f32_f16 v18, v4, v2
	v_dual_dot2acc_f32_f16 v25, v6, v86 :: v_dual_dot2acc_f32_f16 v66, v5, v1
	v_dual_dot2acc_f32_f16 v49, v7, v84 :: v_dual_dot2acc_f32_f16 v22, v5, v2
	ds_load_b128 v[12:15], v81 offset:19456
	v_dual_dot2acc_f32_f16 v31, v7, v87 :: v_dual_dot2acc_f32_f16 v28, v6, v2
	v_dual_dot2acc_f32_f16 v73, v4, v0 :: v_dual_dot2acc_f32_f16 v32, v6, v3
	;; [unrolled: 1-line block ×4, first 2 shown]
	ds_load_b128 v[84:87], v81 offset:19712
	v_dot2acc_f32_f16 v23, v5, v3
	v_dot2acc_f32_f16 v63, v6, v0
	v_dot2acc_f32_f16 v61, v6, v1
	v_dot2acc_f32_f16 v77, v7, v0
	v_dot2acc_f32_f16 v39, v7, v2
	ds_load_b128 v[0:3], v80 offset:3328
	ds_load_b128 v[4:7], v80 offset:3584
	s_waitcnt lgkmcnt(3)
	v_dual_dot2acc_f32_f16 v69, v8, v12 :: v_dual_dot2acc_f32_f16 v40, v9, v14
	v_dot2acc_f32_f16 v70, v8, v13
	v_dot2acc_f32_f16 v46, v8, v14
	v_dual_dot2acc_f32_f16 v47, v8, v15 :: v_dual_dot2acc_f32_f16 v52, v11, v12
	v_dot2acc_f32_f16 v62, v9, v12
	v_dot2acc_f32_f16 v64, v9, v13
	s_waitcnt lgkmcnt(2)
	v_dual_dot2acc_f32_f16 v41, v9, v15 :: v_dual_dot2acc_f32_f16 v76, v8, v85
	v_dot2acc_f32_f16 v56, v10, v12
	v_dual_dot2acc_f32_f16 v57, v10, v13 :: v_dual_dot2acc_f32_f16 v44, v8, v86
	v_dual_dot2acc_f32_f16 v35, v10, v14 :: v_dual_dot2acc_f32_f16 v74, v9, v85
	;; [unrolled: 1-line block ×5, first 2 shown]
	s_waitcnt lgkmcnt(1)
	v_dual_dot2acc_f32_f16 v29, v11, v15 :: v_dual_dot2acc_f32_f16 v58, v0, v12
	v_dual_dot2acc_f32_f16 v79, v8, v84 :: v_dual_dot2acc_f32_f16 v38, v10, v87
	;; [unrolled: 1-line block ×15, first 2 shown]
	ds_load_b128 v[8:11], v81 offset:19968
	v_dual_dot2acc_f32_f16 v31, v3, v15 :: v_dual_dot2acc_f32_f16 v28, v2, v86
	v_dual_dot2acc_f32_f16 v73, v0, v84 :: v_dual_dot2acc_f32_f16 v32, v2, v87
	;; [unrolled: 1-line block ×4, first 2 shown]
	ds_load_b128 v[12:15], v81 offset:20224
	v_dot2acc_f32_f16 v23, v1, v87
	v_dot2acc_f32_f16 v63, v2, v84
	;; [unrolled: 1-line block ×5, first 2 shown]
	ds_load_b128 v[0:3], v80 offset:3840
	ds_load_b128 v[84:87], v81 offset:20480
	s_waitcnt lgkmcnt(3)
	v_dual_dot2acc_f32_f16 v69, v4, v8 :: v_dual_dot2acc_f32_f16 v40, v5, v10
	v_dot2acc_f32_f16 v70, v4, v9
	v_dot2acc_f32_f16 v46, v4, v10
	v_dual_dot2acc_f32_f16 v47, v4, v11 :: v_dual_dot2acc_f32_f16 v52, v7, v8
	v_dot2acc_f32_f16 v62, v5, v8
	v_dot2acc_f32_f16 v64, v5, v9
	s_waitcnt lgkmcnt(2)
	v_dual_dot2acc_f32_f16 v41, v5, v11 :: v_dual_dot2acc_f32_f16 v76, v4, v13
	v_dot2acc_f32_f16 v56, v6, v8
	v_dual_dot2acc_f32_f16 v57, v6, v9 :: v_dual_dot2acc_f32_f16 v44, v4, v14
	v_dual_dot2acc_f32_f16 v35, v6, v10 :: v_dual_dot2acc_f32_f16 v74, v5, v13
	;; [unrolled: 1-line block ×5, first 2 shown]
	v_dot2acc_f32_f16 v29, v7, v11
	v_dual_dot2acc_f32_f16 v79, v4, v12 :: v_dual_dot2acc_f32_f16 v38, v6, v15
	v_dual_dot2acc_f32_f16 v45, v4, v15 :: v_dual_dot2acc_f32_f16 v60, v7, v13
	;; [unrolled: 1-line block ×3, first 2 shown]
	v_dot2acc_f32_f16 v43, v5, v15
	v_dot2acc_f32_f16 v71, v6, v12
	;; [unrolled: 1-line block ×4, first 2 shown]
	ds_load_b128 v[4:7], v80 offset:4096
	s_waitcnt lgkmcnt(2)
	v_dot2acc_f32_f16 v50, v2, v8
	v_dot2acc_f32_f16 v58, v0, v8
	v_dual_dot2acc_f32_f16 v59, v0, v9 :: v_dual_dot2acc_f32_f16 v26, v2, v11
	v_dot2acc_f32_f16 v16, v0, v10
	v_dual_dot2acc_f32_f16 v17, v0, v11 :: v_dual_dot2acc_f32_f16 v48, v3, v9
	v_dual_dot2acc_f32_f16 v55, v1, v8 :: v_dual_dot2acc_f32_f16 v30, v3, v10
	v_dot2acc_f32_f16 v54, v1, v9
	v_dot2acc_f32_f16 v20, v1, v10
	v_dual_dot2acc_f32_f16 v21, v1, v11 :: v_dual_dot2acc_f32_f16 v72, v0, v13
	v_dual_dot2acc_f32_f16 v51, v2, v9 :: v_dual_dot2acc_f32_f16 v18, v0, v14
	;; [unrolled: 1-line block ×8, first 2 shown]
	ds_load_b128 v[8:11], v81 offset:20736
	s_waitcnt lgkmcnt(1)
	v_dual_dot2acc_f32_f16 v23, v1, v15 :: v_dual_dot2acc_f32_f16 v70, v4, v85
	v_dual_dot2acc_f32_f16 v63, v2, v12 :: v_dual_dot2acc_f32_f16 v46, v4, v86
	;; [unrolled: 1-line block ×5, first 2 shown]
	ds_load_b128 v[0:3], v80 offset:4352
	v_dual_dot2acc_f32_f16 v69, v4, v84 :: v_dual_dot2acc_f32_f16 v40, v5, v86
	v_dual_dot2acc_f32_f16 v47, v4, v87 :: v_dual_dot2acc_f32_f16 v52, v7, v84
	v_dot2acc_f32_f16 v41, v5, v87
	v_dot2acc_f32_f16 v57, v6, v85
	;; [unrolled: 1-line block ×3, first 2 shown]
	s_waitcnt lgkmcnt(1)
	v_dual_dot2acc_f32_f16 v37, v6, v87 :: v_dual_dot2acc_f32_f16 v42, v5, v10
	v_dual_dot2acc_f32_f16 v53, v7, v85 :: v_dual_dot2acc_f32_f16 v36, v6, v10
	v_dual_dot2acc_f32_f16 v27, v7, v86 :: v_dual_dot2acc_f32_f16 v68, v6, v9
	v_dot2acc_f32_f16 v29, v7, v87
	v_dual_dot2acc_f32_f16 v79, v4, v8 :: v_dual_dot2acc_f32_f16 v38, v6, v11
	v_dot2acc_f32_f16 v76, v4, v9
	v_dot2acc_f32_f16 v44, v4, v10
	v_dual_dot2acc_f32_f16 v45, v4, v11 :: v_dual_dot2acc_f32_f16 v60, v7, v9
	v_dual_dot2acc_f32_f16 v75, v5, v8 :: v_dual_dot2acc_f32_f16 v34, v7, v11
	v_dot2acc_f32_f16 v74, v5, v9
	v_dot2acc_f32_f16 v43, v5, v11
	;; [unrolled: 1-line block ×5, first 2 shown]
	ds_load_b128 v[4:7], v80 offset:4608
	s_waitcnt lgkmcnt(1)
	v_dot2acc_f32_f16 v50, v2, v84
	v_dot2acc_f32_f16 v58, v0, v84
	v_dual_dot2acc_f32_f16 v59, v0, v85 :: v_dual_dot2acc_f32_f16 v26, v2, v87
	v_dot2acc_f32_f16 v16, v0, v86
	v_dual_dot2acc_f32_f16 v17, v0, v87 :: v_dual_dot2acc_f32_f16 v48, v3, v85
	v_dual_dot2acc_f32_f16 v55, v1, v84 :: v_dual_dot2acc_f32_f16 v30, v3, v86
	v_dot2acc_f32_f16 v54, v1, v85
	v_dot2acc_f32_f16 v20, v1, v86
	v_dual_dot2acc_f32_f16 v21, v1, v87 :: v_dual_dot2acc_f32_f16 v72, v0, v9
	v_dual_dot2acc_f32_f16 v51, v2, v85 :: v_dual_dot2acc_f32_f16 v18, v0, v10
	;; [unrolled: 1-line block ×4, first 2 shown]
	ds_load_b128 v[12:15], v81 offset:20992
	v_dual_dot2acc_f32_f16 v31, v3, v87 :: v_dual_dot2acc_f32_f16 v28, v2, v10
	v_dual_dot2acc_f32_f16 v73, v0, v8 :: v_dual_dot2acc_f32_f16 v32, v2, v11
	;; [unrolled: 1-line block ×4, first 2 shown]
	ds_load_b128 v[84:87], v81 offset:21248
	v_dot2acc_f32_f16 v23, v1, v11
	v_dot2acc_f32_f16 v63, v2, v8
	;; [unrolled: 1-line block ×5, first 2 shown]
	ds_load_b128 v[0:3], v80 offset:4864
	ds_load_b128 v[8:11], v81 offset:21504
	s_waitcnt lgkmcnt(3)
	v_dual_dot2acc_f32_f16 v69, v4, v12 :: v_dual_dot2acc_f32_f16 v40, v5, v14
	v_dot2acc_f32_f16 v70, v4, v13
	v_dot2acc_f32_f16 v46, v4, v14
	v_dual_dot2acc_f32_f16 v47, v4, v15 :: v_dual_dot2acc_f32_f16 v52, v7, v12
	v_dot2acc_f32_f16 v62, v5, v12
	v_dot2acc_f32_f16 v64, v5, v13
	s_waitcnt lgkmcnt(2)
	v_dual_dot2acc_f32_f16 v41, v5, v15 :: v_dual_dot2acc_f32_f16 v76, v4, v85
	v_dot2acc_f32_f16 v56, v6, v12
	v_dual_dot2acc_f32_f16 v57, v6, v13 :: v_dual_dot2acc_f32_f16 v44, v4, v86
	v_dual_dot2acc_f32_f16 v35, v6, v14 :: v_dual_dot2acc_f32_f16 v74, v5, v85
	;; [unrolled: 1-line block ×5, first 2 shown]
	v_dot2acc_f32_f16 v29, v7, v15
	v_dual_dot2acc_f32_f16 v79, v4, v84 :: v_dual_dot2acc_f32_f16 v38, v6, v87
	v_dual_dot2acc_f32_f16 v45, v4, v87 :: v_dual_dot2acc_f32_f16 v60, v7, v85
	;; [unrolled: 1-line block ×3, first 2 shown]
	v_dot2acc_f32_f16 v43, v5, v87
	v_dot2acc_f32_f16 v71, v6, v84
	;; [unrolled: 1-line block ×4, first 2 shown]
	ds_load_b128 v[4:7], v80 offset:5120
	s_waitcnt lgkmcnt(2)
	v_dot2acc_f32_f16 v50, v2, v12
	v_dot2acc_f32_f16 v58, v0, v12
	v_dual_dot2acc_f32_f16 v59, v0, v13 :: v_dual_dot2acc_f32_f16 v26, v2, v15
	v_dot2acc_f32_f16 v16, v0, v14
	v_dual_dot2acc_f32_f16 v17, v0, v15 :: v_dual_dot2acc_f32_f16 v48, v3, v13
	v_dual_dot2acc_f32_f16 v55, v1, v12 :: v_dual_dot2acc_f32_f16 v30, v3, v14
	v_dot2acc_f32_f16 v54, v1, v13
	v_dot2acc_f32_f16 v20, v1, v14
	v_dual_dot2acc_f32_f16 v21, v1, v15 :: v_dual_dot2acc_f32_f16 v72, v0, v85
	v_dual_dot2acc_f32_f16 v51, v2, v13 :: v_dual_dot2acc_f32_f16 v18, v0, v86
	;; [unrolled: 1-line block ×8, first 2 shown]
	s_waitcnt lgkmcnt(0)
	v_dual_dot2acc_f32_f16 v23, v1, v87 :: v_dual_dot2acc_f32_f16 v70, v4, v9
	v_dual_dot2acc_f32_f16 v63, v2, v84 :: v_dual_dot2acc_f32_f16 v46, v4, v10
	;; [unrolled: 1-line block ×5, first 2 shown]
	ds_load_b128 v[0:3], v80 offset:5376
	ds_load_b128 v[84:87], v80 offset:5632
	v_dual_dot2acc_f32_f16 v69, v4, v8 :: v_dual_dot2acc_f32_f16 v40, v5, v10
	v_dual_dot2acc_f32_f16 v47, v4, v11 :: v_dual_dot2acc_f32_f16 v52, v7, v8
	;; [unrolled: 1-line block ×8, first 2 shown]
	v_dot2acc_f32_f16 v29, v7, v11
	v_dual_dot2acc_f32_f16 v79, v4, v88 :: v_dual_dot2acc_f32_f16 v38, v6, v91
	v_dual_dot2acc_f32_f16 v45, v4, v91 :: v_dual_dot2acc_f32_f16 v60, v7, v89
	;; [unrolled: 1-line block ×3, first 2 shown]
	s_waitcnt lgkmcnt(1)
	v_dual_dot2acc_f32_f16 v43, v5, v91 :: v_dual_dot2acc_f32_f16 v16, v0, v10
	v_dual_dot2acc_f32_f16 v71, v6, v88 :: v_dual_dot2acc_f32_f16 v54, v1, v9
	;; [unrolled: 1-line block ×4, first 2 shown]
	v_dot2acc_f32_f16 v58, v0, v8
	v_dual_dot2acc_f32_f16 v59, v0, v9 :: v_dual_dot2acc_f32_f16 v26, v2, v11
	v_dual_dot2acc_f32_f16 v17, v0, v11 :: v_dual_dot2acc_f32_f16 v48, v3, v9
	;; [unrolled: 1-line block ×7, first 2 shown]
	ds_load_b128 v[12:15], v81 offset:22016
	ds_load_b128 v[4:7], v81 offset:22272
	v_dual_dot2acc_f32_f16 v31, v3, v11 :: v_dual_dot2acc_f32_f16 v28, v2, v90
	ds_load_b128 v[8:11], v80 offset:5888
	v_dual_dot2acc_f32_f16 v73, v0, v88 :: v_dual_dot2acc_f32_f16 v32, v2, v91
	v_dual_dot2acc_f32_f16 v19, v0, v91 :: v_dual_dot2acc_f32_f16 v78, v3, v89
	;; [unrolled: 1-line block ×3, first 2 shown]
	v_dot2acc_f32_f16 v23, v1, v91
	v_dot2acc_f32_f16 v63, v2, v88
	;; [unrolled: 1-line block ×5, first 2 shown]
	ds_load_b128 v[0:3], v80 offset:6144
	v_add_nc_u32_e32 v83, s33, v83
	s_waitcnt lgkmcnt(3)
	v_dual_dot2acc_f32_f16 v69, v84, v12 :: v_dual_dot2acc_f32_f16 v40, v85, v14
	v_dot2acc_f32_f16 v70, v84, v13
	v_dot2acc_f32_f16 v46, v84, v14
	v_dual_dot2acc_f32_f16 v47, v84, v15 :: v_dual_dot2acc_f32_f16 v52, v87, v12
	s_waitcnt lgkmcnt(2)
	v_dual_dot2acc_f32_f16 v41, v85, v15 :: v_dual_dot2acc_f32_f16 v76, v84, v5
	v_dual_dot2acc_f32_f16 v57, v86, v13 :: v_dual_dot2acc_f32_f16 v44, v84, v6
	;; [unrolled: 1-line block ×4, first 2 shown]
	s_waitcnt lgkmcnt(1)
	v_dot2acc_f32_f16 v30, v11, v14
	v_mul_lo_u32 v84, v83, s34
	v_dual_dot2acc_f32_f16 v59, v8, v13 :: v_dual_dot2acc_f32_f16 v62, v85, v12
	v_dot2acc_f32_f16 v64, v85, v13
	v_dot2acc_f32_f16 v56, v86, v12
	v_dual_dot2acc_f32_f16 v35, v86, v14 :: v_dual_dot2acc_f32_f16 v74, v85, v5
	v_dual_dot2acc_f32_f16 v37, v86, v15 :: v_dual_dot2acc_f32_f16 v42, v85, v6
	;; [unrolled: 1-line block ×7, first 2 shown]
	v_mad_u64_u32 v[85:86], null, v82, s35, v[84:85]
	v_dual_dot2acc_f32_f16 v29, v87, v15 :: v_dual_dot2acc_f32_f16 v58, v8, v12
	v_dual_dot2acc_f32_f16 v17, v8, v15 :: v_dual_dot2acc_f32_f16 v48, v11, v13
	;; [unrolled: 1-line block ×4, first 2 shown]
	v_dot2acc_f32_f16 v25, v10, v14
	v_dual_dot2acc_f32_f16 v73, v8, v4 :: v_dual_dot2acc_f32_f16 v28, v10, v6
	v_dual_dot2acc_f32_f16 v19, v8, v7 :: v_dual_dot2acc_f32_f16 v78, v11, v5
	v_dual_dot2acc_f32_f16 v65, v87, v4 :: v_dual_lshlrev_b32 v8, 1, v85
	v_dot2acc_f32_f16 v20, v9, v14
	v_dual_dot2acc_f32_f16 v33, v87, v6 :: v_dual_dot2acc_f32_f16 v50, v10, v12
	buffer_load_b64 v[88:89], v8, s[16:19], 0 offen
	v_dual_dot2acc_f32_f16 v55, v9, v12 :: v_dual_dot2acc_f32_f16 v26, v10, v15
	v_dual_dot2acc_f32_f16 v49, v11, v12 :: v_dual_dot2acc_f32_f16 v66, v9, v5
	;; [unrolled: 1-line block ×3, first 2 shown]
	ds_load_b128 v[12:15], v81 offset:22528
	v_add_lshl_u32 v8, v85, s0, 1
	v_dual_dot2acc_f32_f16 v23, v9, v7 :: v_dual_add_nc_u32 v84, s34, v85
	v_dual_dot2acc_f32_f16 v67, v9, v4 :: v_dual_dot2acc_f32_f16 v32, v10, v7
	buffer_load_b64 v[90:91], v8, s[16:19], 0 offen
	v_dual_dot2acc_f32_f16 v63, v10, v4 :: v_dual_dot2acc_f32_f16 v24, v11, v7
	v_lshlrev_b32_e32 v85, 1, v84
	v_dot2acc_f32_f16 v61, v10, v5
	v_dot2acc_f32_f16 v77, v11, v4
	;; [unrolled: 1-line block ×3, first 2 shown]
	ds_load_b128 v[4:7], v81 offset:22784
	ds_load_b128 v[8:11], v80 offset:6400
	s_waitcnt lgkmcnt(2)
	v_dot2acc_f32_f16 v62, v1, v12
	v_dot2acc_f32_f16 v64, v1, v13
	buffer_load_b64 v[92:93], v85, s[16:19], 0 offen
	v_add_lshl_u32 v85, v84, s0, 1
	v_dual_dot2acc_f32_f16 v57, v2, v13 :: v_dual_add_nc_u32 v84, s34, v84
	v_dual_dot2acc_f32_f16 v69, v0, v12 :: v_dual_dot2acc_f32_f16 v40, v1, v14
	buffer_load_b64 v[94:95], v85, s[16:19], 0 offen
	v_dot2acc_f32_f16 v70, v0, v13
	v_dot2acc_f32_f16 v46, v0, v14
	v_dual_dot2acc_f32_f16 v47, v0, v15 :: v_dual_dot2acc_f32_f16 v56, v2, v12
	s_waitcnt lgkmcnt(1)
	v_dual_dot2acc_f32_f16 v35, v2, v14 :: v_dual_dot2acc_f32_f16 v76, v0, v5
	v_dual_dot2acc_f32_f16 v37, v2, v15 :: v_dual_dot2acc_f32_f16 v44, v0, v6
	;; [unrolled: 1-line block ×4, first 2 shown]
	v_add_lshl_u32 v0, v84, s0, 1
	v_dual_dot2acc_f32_f16 v38, v2, v7 :: v_dual_lshlrev_b32 v85, 1, v84
	v_dual_dot2acc_f32_f16 v43, v1, v7 :: v_dual_add_nc_u32 v84, s34, v84
	s_clause 0x1
	buffer_load_b64 v[98:99], v0, s[16:19], 0 offen
	buffer_load_b64 v[96:97], v85, s[16:19], 0 offen
	s_waitcnt lgkmcnt(0)
	v_dual_dot2acc_f32_f16 v20, v9, v14 :: v_dual_dot2acc_f32_f16 v71, v2, v4
	v_dual_dot2acc_f32_f16 v16, v8, v14 :: v_dual_lshlrev_b32 v85, 1, v84
	v_dual_dot2acc_f32_f16 v33, v3, v6 :: v_dual_dot2acc_f32_f16 v58, v8, v12
	v_dual_dot2acc_f32_f16 v59, v8, v13 :: v_dual_dot2acc_f32_f16 v50, v10, v12
	buffer_load_b64 v[100:101], v85, s[16:19], 0 offen
	v_add_lshl_u32 v85, v84, s0, 1
	v_dual_dot2acc_f32_f16 v17, v8, v15 :: v_dual_dot2acc_f32_f16 v48, v11, v13
	v_dual_dot2acc_f32_f16 v51, v10, v13 :: v_dual_dot2acc_f32_f16 v18, v8, v6
	buffer_load_b64 v[102:103], v85, s[16:19], 0 offen
	v_mad_u64_u32 v[85:86], null, s34, 61, v[84:85]
	v_dot2acc_f32_f16 v25, v10, v14
	v_dual_dot2acc_f32_f16 v49, v11, v12 :: v_dual_dot2acc_f32_f16 v72, v8, v5
	v_dual_dot2acc_f32_f16 v73, v8, v4 :: v_dual_dot2acc_f32_f16 v22, v9, v6
	;; [unrolled: 1-line block ×3, first 2 shown]
	v_lshlrev_b32_e32 v84, 1, v85
	v_add_lshl_u32 v8, v85, s0, 1
	v_dual_dot2acc_f32_f16 v41, v1, v15 :: v_dual_dot2acc_f32_f16 v52, v3, v12
	v_dual_dot2acc_f32_f16 v53, v3, v13 :: v_dual_dot2acc_f32_f16 v42, v1, v6
	s_clause 0x1
	buffer_load_b64 v[104:105], v84, s[16:19], 0 offen
	buffer_load_b64 v[106:107], v8, s[16:19], 0 offen
	v_dual_dot2acc_f32_f16 v27, v3, v14 :: v_dual_dot2acc_f32_f16 v74, v1, v5
	v_dual_dot2acc_f32_f16 v29, v3, v15 :: v_dual_dot2acc_f32_f16 v68, v2, v5
	;; [unrolled: 1-line block ×4, first 2 shown]
	ds_load_b128 v[0:3], v80 offset:6656
	v_dual_dot2acc_f32_f16 v55, v9, v12 :: v_dual_dot2acc_f32_f16 v26, v10, v15
	v_dual_dot2acc_f32_f16 v21, v9, v15 :: v_dual_dot2acc_f32_f16 v30, v11, v14
	;; [unrolled: 1-line block ×3, first 2 shown]
	ds_load_b128 v[12:15], v81 offset:23040
	v_dual_dot2acc_f32_f16 v23, v9, v7 :: v_dual_add_nc_u32 v84, s34, v85
	v_dual_dot2acc_f32_f16 v67, v9, v4 :: v_dual_dot2acc_f32_f16 v32, v10, v7
	v_dual_dot2acc_f32_f16 v63, v10, v4 :: v_dual_dot2acc_f32_f16 v78, v11, v5
	;; [unrolled: 1-line block ×3, first 2 shown]
	v_dot2acc_f32_f16 v77, v11, v4
	v_dot2acc_f32_f16 v39, v11, v6
	ds_load_b128 v[4:7], v81 offset:23296
	ds_load_b128 v[8:11], v80 offset:6912
	s_waitcnt lgkmcnt(2)
	v_dual_dot2acc_f32_f16 v46, v0, v14 :: v_dual_lshlrev_b32 v85, 1, v84
	buffer_load_b64 v[108:109], v85, s[16:19], 0 offen
	v_add_lshl_u32 v85, v84, s0, 1
	v_dual_dot2acc_f32_f16 v57, v2, v13 :: v_dual_add_nc_u32 v84, s34, v84
	v_dual_dot2acc_f32_f16 v69, v0, v12 :: v_dual_dot2acc_f32_f16 v64, v1, v13
	buffer_load_b64 v[110:111], v85, s[16:19], 0 offen
	v_dual_dot2acc_f32_f16 v70, v0, v13 :: v_dual_lshlrev_b32 v85, 1, v84
	v_dual_dot2acc_f32_f16 v47, v0, v15 :: v_dual_dot2acc_f32_f16 v40, v1, v14
	s_waitcnt lgkmcnt(1)
	v_dual_dot2acc_f32_f16 v44, v0, v6 :: v_dual_dot2acc_f32_f16 v37, v2, v15
	v_dot2acc_f32_f16 v76, v0, v5
	buffer_load_b64 v[112:113], v85, s[16:19], 0 offen
	v_dual_dot2acc_f32_f16 v79, v0, v4 :: v_dual_dot2acc_f32_f16 v36, v2, v6
	v_dual_dot2acc_f32_f16 v45, v0, v7 :: v_dual_dot2acc_f32_f16 v60, v3, v5
	v_add_lshl_u32 v0, v84, s0, 1
	v_dual_dot2acc_f32_f16 v43, v1, v7 :: v_dual_add_nc_u32 v84, s34, v84
	s_waitcnt lgkmcnt(0)
	v_dot2acc_f32_f16 v54, v9, v13
	v_dot2acc_f32_f16 v62, v1, v12
	buffer_load_b64 v[114:115], v0, s[16:19], 0 offen
	v_dual_dot2acc_f32_f16 v41, v1, v15 :: v_dual_dot2acc_f32_f16 v56, v2, v12
	v_lshlrev_b32_e32 v85, 1, v84
	v_add_lshl_u32 v84, v84, s0, 1
	v_dual_dot2acc_f32_f16 v35, v2, v14 :: v_dual_dot2acc_f32_f16 v52, v3, v12
	v_dual_dot2acc_f32_f16 v53, v3, v13 :: v_dual_dot2acc_f32_f16 v42, v1, v6
	s_clause 0x1
	buffer_load_b64 v[116:117], v85, s[16:19], 0 offen
	buffer_load_b64 v[118:119], v84, s[16:19], 0 offen
	v_dual_dot2acc_f32_f16 v27, v3, v14 :: v_dual_dot2acc_f32_f16 v74, v1, v5
	v_dual_dot2acc_f32_f16 v29, v3, v15 :: v_dual_dot2acc_f32_f16 v68, v2, v5
	;; [unrolled: 1-line block ×6, first 2 shown]
	ds_load_b128 v[0:3], v80 offset:7168
	v_dual_dot2acc_f32_f16 v59, v8, v13 :: v_dual_dot2acc_f32_f16 v20, v9, v14
	v_dual_dot2acc_f32_f16 v17, v8, v15 :: v_dual_dot2acc_f32_f16 v50, v10, v12
	;; [unrolled: 1-line block ×7, first 2 shown]
	ds_load_b128 v[84:87], v81 offset:23552
	v_dual_dot2acc_f32_f16 v31, v11, v15 :: v_dual_dot2acc_f32_f16 v66, v9, v5
	v_dual_dot2acc_f32_f16 v73, v8, v4 :: v_dual_dot2acc_f32_f16 v22, v9, v6
	v_dual_dot2acc_f32_f16 v19, v8, v7 :: v_dual_dot2acc_f32_f16 v28, v10, v6
	v_dual_dot2acc_f32_f16 v67, v9, v4 :: v_dual_dot2acc_f32_f16 v32, v10, v7
	v_dual_dot2acc_f32_f16 v23, v9, v7 :: v_dual_dot2acc_f32_f16 v78, v11, v5
	v_dual_dot2acc_f32_f16 v63, v10, v4 :: v_dual_dot2acc_f32_f16 v24, v11, v7
	ds_load_b128 v[12:15], v81 offset:23808
	v_dot2acc_f32_f16 v61, v10, v5
	v_dot2acc_f32_f16 v77, v11, v4
	;; [unrolled: 1-line block ×3, first 2 shown]
	ds_load_b128 v[4:7], v80 offset:7424
	ds_load_b128 v[8:11], v81 offset:24064
	v_cmp_gt_i32_e64 s0, s14, v83
	s_waitcnt lgkmcnt(3)
	v_dual_dot2acc_f32_f16 v69, v0, v84 :: v_dual_dot2acc_f32_f16 v64, v1, v85
	v_dot2acc_f32_f16 v70, v0, v85
	v_dot2acc_f32_f16 v46, v0, v86
	v_dual_dot2acc_f32_f16 v47, v0, v87 :: v_dual_dot2acc_f32_f16 v40, v1, v86
	v_dot2acc_f32_f16 v62, v1, v84
	v_dual_dot2acc_f32_f16 v41, v1, v87 :: v_dual_dot2acc_f32_f16 v56, v2, v84
	v_dual_dot2acc_f32_f16 v57, v2, v85 :: v_dual_dot2acc_f32_f16 v52, v3, v84
	v_dot2acc_f32_f16 v35, v2, v86
	s_waitcnt lgkmcnt(2)
	v_dual_dot2acc_f32_f16 v37, v2, v87 :: v_dual_dot2acc_f32_f16 v44, v0, v14
	v_dual_dot2acc_f32_f16 v53, v3, v85 :: v_dual_dot2acc_f32_f16 v42, v1, v14
	;; [unrolled: 1-line block ×5, first 2 shown]
	v_dot2acc_f32_f16 v76, v0, v13
	v_dual_dot2acc_f32_f16 v45, v0, v15 :: v_dual_dot2acc_f32_f16 v60, v3, v13
	v_dual_dot2acc_f32_f16 v75, v1, v12 :: v_dual_dot2acc_f32_f16 v38, v2, v15
	s_waitcnt lgkmcnt(1)
	v_dual_dot2acc_f32_f16 v43, v1, v15 :: v_dual_dot2acc_f32_f16 v58, v4, v84
	v_dual_dot2acc_f32_f16 v71, v2, v12 :: v_dual_dot2acc_f32_f16 v34, v3, v15
	;; [unrolled: 1-line block ×4, first 2 shown]
	ds_load_b128 v[0:3], v80 offset:7680
	v_dual_dot2acc_f32_f16 v59, v4, v85 :: v_dual_dot2acc_f32_f16 v20, v5, v86
	v_dual_dot2acc_f32_f16 v17, v4, v87 :: v_dual_dot2acc_f32_f16 v50, v6, v84
	;; [unrolled: 1-line block ×8, first 2 shown]
	ds_load_b128 v[84:87], v81 offset:24320
	v_dual_dot2acc_f32_f16 v73, v4, v12 :: v_dual_dot2acc_f32_f16 v22, v5, v14
	v_dual_dot2acc_f32_f16 v19, v4, v15 :: v_dual_dot2acc_f32_f16 v28, v6, v14
	;; [unrolled: 1-line block ×5, first 2 shown]
	v_dot2acc_f32_f16 v61, v6, v13
	v_dot2acc_f32_f16 v77, v7, v12
	;; [unrolled: 1-line block ×3, first 2 shown]
	ds_load_b128 v[4:7], v80 offset:7936
	s_waitcnt lgkmcnt(2)
	v_dot2acc_f32_f16 v62, v1, v8
	s_and_b32 s1, s0, vcc_lo
	v_dual_dot2acc_f32_f16 v69, v0, v8 :: v_dual_dot2acc_f32_f16 v64, v1, v9
	v_dot2acc_f32_f16 v70, v0, v9
	v_dot2acc_f32_f16 v46, v0, v10
	v_dual_dot2acc_f32_f16 v47, v0, v11 :: v_dual_dot2acc_f32_f16 v40, v1, v10
	s_waitcnt lgkmcnt(1)
	v_dual_dot2acc_f32_f16 v35, v2, v10 :: v_dual_dot2acc_f32_f16 v76, v0, v85
	v_dual_dot2acc_f32_f16 v37, v2, v11 :: v_dual_dot2acc_f32_f16 v44, v0, v86
	;; [unrolled: 1-line block ×8, first 2 shown]
	s_waitcnt lgkmcnt(0)
	v_dual_dot2acc_f32_f16 v43, v1, v87 :: v_dual_dot2acc_f32_f16 v58, v4, v8
	v_dual_dot2acc_f32_f16 v57, v2, v9 :: v_dual_dot2acc_f32_f16 v52, v3, v8
	;; [unrolled: 1-line block ×4, first 2 shown]
	v_or_b32_e32 v81, 1, v83
	v_dual_dot2acc_f32_f16 v65, v3, v84 :: v_dual_dot2acc_f32_f16 v16, v4, v10
	v_dual_dot2acc_f32_f16 v33, v3, v86 :: v_dual_dot2acc_f32_f16 v54, v5, v9
	;; [unrolled: 1-line block ×8, first 2 shown]
	s_waitcnt vmcnt(15)
	v_cndmask_b32_e64 v0, 0, v88, s1
	v_cndmask_b32_e64 v12, 0, v89, s1
	v_dual_dot2acc_f32_f16 v67, v5, v84 :: v_dual_dot2acc_f32_f16 v32, v6, v87
	v_dual_dot2acc_f32_f16 v63, v6, v84 :: v_dual_dot2acc_f32_f16 v24, v7, v87
	s_delay_alu instid0(VALU_DEP_4) | instskip(SKIP_3) | instid1(VALU_DEP_4)
	v_lshrrev_b32_e32 v1, 16, v0
	v_cvt_f32_f16_e32 v0, v0
	v_dot2acc_f32_f16 v61, v6, v85
	v_dual_dot2acc_f32_f16 v31, v7, v11 :: v_dual_dot2acc_f32_f16 v66, v5, v85
	v_cvt_f32_f16_e32 v1, v1
	s_delay_alu instid0(VALU_DEP_4) | instskip(SKIP_2) | instid1(VALU_DEP_3)
	v_dual_add_f32 v0, v69, v0 :: v_dual_add_nc_u32 v15, 64, v82
	v_dual_dot2acc_f32_f16 v23, v5, v87 :: v_dual_dot2acc_f32_f16 v78, v7, v85
	v_or_b32_e32 v85, 2, v83
	v_max_f32_e32 v14, 0, v0
	s_delay_alu instid0(VALU_DEP_4) | instskip(SKIP_3) | instid1(VALU_DEP_4)
	v_cmp_gt_i32_e64 s1, s28, v15
	v_or_b32_e32 v88, 3, v83
	v_dual_dot2acc_f32_f16 v55, v5, v8 :: v_dual_dot2acc_f32_f16 v26, v6, v11
	v_dual_dot2acc_f32_f16 v51, v6, v9 :: v_dual_dot2acc_f32_f16 v30, v7, v10
	s_and_b32 s0, s0, s1
	v_dual_dot2acc_f32_f16 v21, v5, v11 :: v_dual_dot2acc_f32_f16 v48, v7, v9
	s_waitcnt vmcnt(14)
	v_cndmask_b32_e64 v2, 0, v90, s0
	v_cndmask_b32_e64 v80, 0, v91, s0
	v_cmp_gt_i32_e64 s0, s14, v81
	s_delay_alu instid0(VALU_DEP_3) | instskip(SKIP_1) | instid1(VALU_DEP_3)
	v_cvt_f32_f16_e32 v3, v2
	v_lshrrev_b32_e32 v2, 16, v2
	s_and_b32 s2, s0, vcc_lo
	s_and_b32 s0, s0, s1
	s_waitcnt vmcnt(13)
	v_cndmask_b32_e64 v4, 0, v92, s2
	v_cndmask_b32_e64 v69, 0, v93, s2
	v_cvt_f32_f16_e32 v2, v2
	s_delay_alu instid0(VALU_DEP_1) | instskip(NEXT) | instid1(VALU_DEP_1)
	v_dual_add_f32 v1, v70, v1 :: v_dual_add_f32 v0, v76, v2
	v_dual_dot2acc_f32_f16 v77, v7, v84 :: v_dual_max_f32 v70, 0, v1
	v_dot2acc_f32_f16 v39, v7, v86
	s_waitcnt vmcnt(12)
	v_cndmask_b32_e64 v2, 0, v94, s0
	v_max_f32_e32 v84, 0, v0
	v_cvt_f32_f16_e32 v0, v4
	v_add_f32_e32 v3, v79, v3
	v_lshrrev_b32_e32 v1, 16, v4
	v_cndmask_b32_e64 v76, 0, v95, s0
	v_cmp_gt_i32_e64 s0, s14, v85
	s_delay_alu instid0(VALU_DEP_4)
	v_dual_add_f32 v0, v62, v0 :: v_dual_max_f32 v79, 0, v3
	v_cvt_f32_f16_e32 v3, v2
	v_lshrrev_b32_e32 v2, 16, v2
	v_cvt_f32_f16_e32 v1, v1
	s_and_b32 s2, s0, vcc_lo
	s_and_b32 s0, s0, s1
	s_waitcnt vmcnt(10)
	v_cndmask_b32_e64 v4, 0, v96, s2
	v_cvt_f32_f16_e32 v2, v2
	v_add_f32_e32 v3, v75, v3
	v_dual_add_f32 v1, v64, v1 :: v_dual_max_f32 v64, 0, v0
	v_cndmask_b32_e64 v62, 0, v97, s2
	s_delay_alu instid0(VALU_DEP_4) | instskip(NEXT) | instid1(VALU_DEP_4)
	v_add_f32_e32 v0, v74, v2
	v_max_f32_e32 v86, 0, v3
	v_cndmask_b32_e64 v2, 0, v98, s0
	v_cndmask_b32_e64 v74, 0, v99, s0
	v_cmp_gt_i32_e64 s0, s14, v88
	s_delay_alu instid0(VALU_DEP_3) | instskip(SKIP_1) | instid1(VALU_DEP_3)
	v_cvt_f32_f16_e32 v3, v2
	v_lshrrev_b32_e32 v2, 16, v2
	s_and_b32 s2, s0, vcc_lo
	s_and_b32 s0, s0, s1
	s_delay_alu instid0(VALU_DEP_2) | instskip(NEXT) | instid1(VALU_DEP_2)
	v_add_f32_e32 v3, v71, v3
	v_cvt_f32_f16_e32 v2, v2
	v_max_f32_e32 v87, 0, v0
	v_cvt_f32_f16_e32 v0, v4
	v_max_f32_e32 v75, 0, v1
	v_lshrrev_b32_e32 v1, 16, v4
	s_waitcnt vmcnt(9)
	v_cndmask_b32_e64 v4, 0, v100, s2
	v_dual_max_f32 v89, 0, v3 :: v_dual_add_f32 v0, v56, v0
	v_cndmask_b32_e64 v56, 0, v101, s2
	v_cvt_f32_f16_e32 v1, v1
	s_delay_alu instid0(VALU_DEP_4) | instskip(NEXT) | instid1(VALU_DEP_2)
	v_cvt_f32_f16_e32 v3, v4
	v_add_f32_e32 v1, v57, v1
	v_dual_max_f32 v57, 0, v0 :: v_dual_add_f32 v0, v68, v2
	s_waitcnt vmcnt(8)
	v_cndmask_b32_e64 v2, 0, v102, s0
	v_add_f32_e32 v3, v52, v3
	v_cndmask_b32_e64 v68, 0, v103, s0
	v_max_f32_e32 v90, 0, v0
	v_dual_max_f32 v71, 0, v1 :: v_dual_add_nc_u32 v0, 64, v83
	v_lshrrev_b32_e32 v1, 16, v4
	v_cvt_f32_f16_e32 v4, v2
	v_lshrrev_b32_e32 v2, 16, v2
	s_delay_alu instid0(VALU_DEP_4) | instskip(NEXT) | instid1(VALU_DEP_4)
	v_cmp_gt_i32_e64 s0, s14, v0
	v_cvt_f32_f16_e32 v1, v1
	s_delay_alu instid0(VALU_DEP_4) | instskip(NEXT) | instid1(VALU_DEP_4)
	v_add_f32_e32 v4, v65, v4
	v_cvt_f32_f16_e32 v2, v2
	s_delay_alu instid0(VALU_DEP_4)
	s_and_b32 s2, s0, vcc_lo
	s_and_b32 s0, s0, s1
	s_waitcnt vmcnt(7)
	v_cndmask_b32_e64 v6, 0, v104, s2
	v_dual_add_f32 v5, v53, v1 :: v_dual_add_f32 v2, v60, v2
	s_waitcnt vmcnt(6)
	v_cndmask_b32_e64 v7, 0, v106, s0
	v_cndmask_b32_e64 v1, 0, v105, s2
	s_delay_alu instid0(VALU_DEP_3)
	v_max_f32_e32 v60, 0, v2
	v_max_f32_e32 v52, 0, v3
	v_lshrrev_b32_e32 v3, 16, v6
	v_cvt_f32_f16_e32 v2, v6
	v_cvt_f32_f16_e32 v6, v7
	v_lshrrev_b32_e32 v7, 16, v7
	s_delay_alu instid0(VALU_DEP_4) | instskip(SKIP_3) | instid1(VALU_DEP_4)
	v_cvt_f32_f16_e32 v3, v3
	v_dual_max_f32 v65, 0, v4 :: v_dual_add_nc_u32 v4, 0x41, v83
	v_dual_max_f32 v53, 0, v5 :: v_dual_add_f32 v2, v58, v2
	v_cndmask_b32_e64 v5, 0, v107, s0
	v_add_f32_e32 v8, v59, v3
	s_delay_alu instid0(VALU_DEP_4)
	v_cmp_gt_i32_e64 s0, s14, v4
	v_cvt_f32_f16_e32 v7, v7
	v_max_f32_e32 v3, 0, v2
	v_add_f32_e32 v6, v73, v6
	v_max_f32_e32 v2, 0, v8
	s_and_b32 s2, s0, vcc_lo
	v_add_f32_e32 v7, v72, v7
	s_waitcnt vmcnt(5)
	v_cndmask_b32_e64 v9, 0, v108, s2
	s_and_b32 s0, s0, s1
	v_cndmask_b32_e64 v58, 0, v109, s2
	s_waitcnt vmcnt(4)
	v_cndmask_b32_e64 v13, 0, v110, s0
	v_dual_max_f32 v6, 0, v6 :: v_dual_max_f32 v7, 0, v7
	v_lshrrev_b32_e32 v8, 16, v9
	v_cvt_f32_f16_e32 v11, v9
	v_cndmask_b32_e64 v9, 0, v111, s0
	s_delay_alu instid0(VALU_DEP_4)
	v_cvt_f16_f32_e32 v6, v6
	v_cvt_f16_f32_e32 v7, v7
	v_cvt_f32_f16_e32 v8, v8
	v_add_f32_e32 v11, v55, v11
	v_lshrrev_b32_e32 v55, 16, v13
	v_cvt_f32_f16_e32 v13, v13
	v_add_nc_u32_e32 v10, 0x42, v83
	v_add_f32_e32 v8, v54, v8
	v_cvt_f16_f32_e32 v3, v3
	v_cvt_f32_f16_e32 v54, v55
	v_add_f32_e32 v13, v67, v13
	v_cmp_gt_i32_e64 s0, s14, v10
	v_max_f32_e32 v55, 0, v11
	s_delay_alu instid0(VALU_DEP_4) | instskip(NEXT) | instid1(VALU_DEP_4)
	v_dual_max_f32 v67, 0, v8 :: v_dual_add_f32 v8, v66, v54
	v_max_f32_e32 v73, 0, v13
	s_delay_alu instid0(VALU_DEP_4)
	s_and_b32 s2, s0, vcc_lo
	s_and_b32 s0, s0, s1
	s_waitcnt vmcnt(3)
	v_cndmask_b32_e64 v72, 0, v112, s2
	v_max_f32_e32 v8, 0, v8
	s_waitcnt vmcnt(2)
	v_cndmask_b32_e64 v54, 0, v115, s0
	v_cndmask_b32_e64 v66, 0, v114, s0
	;; [unrolled: 1-line block ×3, first 2 shown]
	v_lshrrev_b32_e32 v11, 16, v72
	v_cvt_f32_f16_e32 v13, v72
	v_add_nc_u32_e32 v72, 0x43, v83
	s_lshl_b32 s2, s25, 6
	v_cvt_f16_f32_e32 v8, v8
	v_cvt_f32_f16_e32 v11, v11
	v_add_f32_e32 v13, v50, v13
	v_cmp_gt_i32_e64 s0, s14, v72
	v_cvt_f32_f16_e32 v50, v66
	s_lshl_b32 s14, s15, 1
	s_mov_b32 s15, s11
	v_cvt_f16_f32_e32 v2, v2
	s_and_b32 vcc_lo, s0, vcc_lo
	v_add_f32_e32 v11, v51, v11
	v_max_f32_e32 v51, 0, v13
	s_waitcnt vmcnt(1)
	v_dual_add_f32 v13, v63, v50 :: v_dual_cndmask_b32 v50, 0, v117
	v_cndmask_b32_e32 v63, 0, v116, vcc_lo
	v_max_f32_e32 v91, 0, v11
	v_lshrrev_b32_e32 v11, 16, v66
	s_and_b32 vcc_lo, s0, s1
	v_cmp_gt_i32_e64 s1, s10, v83
	v_cvt_f32_f16_e32 v93, v63
	s_waitcnt vmcnt(0)
	v_cndmask_b32_e32 v92, 0, v118, vcc_lo
	v_cvt_f32_f16_e32 v11, v11
	v_cndmask_b32_e32 v66, 0, v119, vcc_lo
	v_cmp_gt_i32_e32 vcc_lo, s26, v82
	v_add_f32_e32 v49, v49, v93
	s_delay_alu instid0(VALU_DEP_4) | instskip(SKIP_2) | instid1(VALU_DEP_2)
	v_add_f32_e32 v11, v61, v11
	v_lshrrev_b32_e32 v61, 16, v63
	s_and_b32 s0, s1, vcc_lo
	v_max_f32_e32 v93, 0, v11
	s_delay_alu instid0(VALU_DEP_2) | instskip(SKIP_1) | instid1(VALU_DEP_2)
	v_cvt_f32_f16_e32 v11, v61
	v_cvt_f32_f16_e32 v61, v92
	v_dual_add_f32 v48, v48, v11 :: v_dual_max_f32 v63, 0, v13
	v_lshrrev_b32_e32 v13, 16, v92
	v_lshrrev_b32_e32 v92, 16, v12
	s_delay_alu instid0(VALU_DEP_4)
	v_add_f32_e32 v61, v77, v61
	v_cvt_f32_f16_e32 v12, v12
	v_mul_lo_u32 v11, v83, s24
	v_cvt_f32_f16_e32 v13, v13
	v_cvt_f32_f16_e32 v77, v92
	v_max_f32_e32 v48, 0, v48
	v_add_f32_e32 v46, v46, v12
	s_delay_alu instid0(VALU_DEP_4) | instskip(NEXT) | instid1(VALU_DEP_4)
	v_add_f32_e32 v13, v78, v13
	v_add_f32_e32 v47, v47, v77
	s_delay_alu instid0(VALU_DEP_2) | instskip(SKIP_2) | instid1(VALU_DEP_4)
	v_max_f32_e32 v78, 0, v13
	v_mad_u64_u32 v[12:13], null, v82, s25, v[11:12]
	v_cvt_f16_f32_e32 v11, v14
	v_dual_max_f32 v13, 0, v47 :: v_dual_max_f32 v14, 0, v46
	v_cvt_f16_f32_e32 v46, v70
	s_delay_alu instid0(VALU_DEP_2) | instskip(NEXT) | instid1(VALU_DEP_3)
	v_cvt_f16_f32_e32 v47, v13
	v_cvt_f16_f32_e32 v14, v14
	s_delay_alu instid0(VALU_DEP_3)
	v_pack_b32_f16 v13, v11, v46
	v_lshrrev_b32_e32 v11, 16, v80
	v_cndmask_b32_e64 v46, 0x80000000, 0, s0
	v_cmp_gt_i32_e64 s0, s26, v15
	v_pack_b32_f16 v14, v14, v47
	v_cvt_f32_f16_e32 v47, v80
	v_cvt_f32_f16_e32 v11, v11
	v_lshl_add_u32 v46, v12, 1, v46
	v_cvt_f16_f32_e32 v15, v84
	s_and_b32 s1, s1, s0
	v_add_f32_e32 v44, v44, v47
	v_add_f32_e32 v11, v45, v11
	buffer_store_b64 v[13:14], v46, s[12:15], 0 offen
	v_cvt_f16_f32_e32 v13, v79
	v_cvt_f32_f16_e32 v47, v76
	v_dual_max_f32 v14, 0, v44 :: v_dual_max_f32 v11, 0, v11
	v_lshrrev_b32_e32 v44, 16, v76
	s_delay_alu instid0(VALU_DEP_4) | instskip(SKIP_1) | instid1(VALU_DEP_4)
	v_pack_b32_f16 v13, v13, v15
	v_add_nc_u32_e32 v45, s2, v12
	v_cvt_f16_f32_e32 v14, v14
	v_cvt_f16_f32_e32 v11, v11
	v_cvt_f32_f16_e32 v44, v44
	v_cndmask_b32_e64 v46, 0x80000000, 0, s1
	v_cmp_gt_i32_e64 s1, s10, v81
	s_delay_alu instid0(VALU_DEP_4) | instskip(NEXT) | instid1(VALU_DEP_4)
	v_pack_b32_f16 v14, v14, v11
	v_add_f32_e32 v15, v43, v44
	v_add_f32_e32 v11, v42, v47
	v_lshrrev_b32_e32 v42, 16, v69
	v_cvt_f32_f16_e32 v69, v69
	v_lshl_add_u32 v44, v45, 1, v46
	v_max_f32_e32 v15, 0, v15
	v_max_f32_e32 v11, 0, v11
	v_cvt_f32_f16_e32 v47, v42
	v_cvt_f16_f32_e32 v43, v86
	v_cvt_f16_f32_e32 v46, v87
	;; [unrolled: 1-line block ×4, first 2 shown]
	v_dual_add_f32 v41, v41, v47 :: v_dual_add_f32 v40, v40, v69
	v_max_f32_e32 v49, 0, v49
	v_pack_b32_f16 v42, v43, v46
	s_delay_alu instid0(VALU_DEP_4) | instskip(NEXT) | instid1(VALU_DEP_4)
	v_pack_b32_f16 v43, v11, v15
	v_dual_max_f32 v15, 0, v41 :: v_dual_max_f32 v40, 0, v40
	s_and_b32 s3, s1, s0
	s_and_b32 s1, s1, vcc_lo
	v_add_nc_u32_e32 v45, s24, v45
	v_cndmask_b32_e64 v11, 0x80000000, 0, s3
	v_add_nc_u32_e32 v41, s24, v12
	v_cvt_f16_f32_e32 v12, v64
	v_cvt_f16_f32_e32 v46, v75
	;; [unrolled: 1-line block ×4, first 2 shown]
	v_lshrrev_b32_e32 v47, 16, v62
	v_cndmask_b32_e64 v64, 0x80000000, 0, s1
	v_lshl_add_u32 v69, v45, 1, v11
	v_pack_b32_f16 v11, v12, v46
	v_pack_b32_f16 v12, v40, v15
	v_cvt_f32_f16_e32 v15, v47
	v_lshl_add_u32 v40, v41, 1, v64
	buffer_store_b64 v[13:14], v44, s[12:15], 0 offen
	v_cvt_f32_f16_e32 v13, v62
	buffer_store_b64 v[42:43], v69, s[12:15], 0 offen
	v_add_f32_e32 v14, v37, v15
	buffer_store_b64 v[11:12], v40, s[12:15], 0 offen
	v_cvt_f16_f32_e32 v12, v57
	v_add_f32_e32 v11, v35, v13
	v_cvt_f16_f32_e32 v35, v71
	v_max_f32_e32 v13, 0, v14
	v_lshrrev_b32_e32 v14, 16, v74
	v_cvt_f32_f16_e32 v37, v74
	v_max_f32_e32 v11, 0, v11
	v_cmp_gt_i32_e64 s1, s10, v85
	v_cvt_f16_f32_e32 v13, v13
	v_cvt_f32_f16_e32 v14, v14
	v_add_f32_e32 v36, v36, v37
	v_cvt_f16_f32_e32 v40, v11
	v_pack_b32_f16 v11, v12, v35
	v_lshrrev_b32_e32 v35, 16, v68
	v_add_f32_e32 v14, v38, v14
	s_and_b32 s3, s1, vcc_lo
	v_pack_b32_f16 v12, v40, v13
	v_cvt_f32_f16_e32 v40, v68
	v_cvt_f32_f16_e32 v35, v35
	v_max_f32_e32 v61, 0, v61
	v_add_nc_u32_e32 v15, s24, v41
	v_cndmask_b32_e64 v41, 0x80000000, 0, s3
	v_dual_max_f32 v13, 0, v14 :: v_dual_max_f32 v14, 0, v36
	v_dual_add_f32 v34, v34, v35 :: v_dual_add_f32 v33, v33, v40
	s_and_b32 s1, s1, s0
	s_delay_alu instid0(VALU_DEP_3)
	v_lshl_add_u32 v15, v15, 1, v41
	v_cndmask_b32_e64 v35, 0x80000000, 0, s1
	v_cmp_gt_i32_e64 s1, s10, v88
	v_cvt_f16_f32_e32 v36, v89
	v_cvt_f16_f32_e32 v37, v90
	;; [unrolled: 1-line block ×4, first 2 shown]
	v_dual_max_f32 v34, 0, v34 :: v_dual_add_nc_u32 v41, s24, v45
	v_max_f32_e32 v33, 0, v33
	s_and_b32 s3, s1, s0
	v_pack_b32_f16 v13, v36, v37
	v_pack_b32_f16 v14, v14, v38
	v_add_nc_u32_e32 v36, s24, v41
	v_cvt_f16_f32_e32 v37, v65
	v_cvt_f16_f32_e32 v38, v60
	;; [unrolled: 1-line block ×4, first 2 shown]
	v_cndmask_b32_e64 v42, 0x80000000, 0, s3
	v_lshrrev_b32_e32 v43, 16, v56
	v_lshl_add_u32 v35, v41, 1, v35
	v_pack_b32_f16 v33, v37, v38
	v_pack_b32_f16 v34, v40, v34
	v_lshl_add_u32 v37, v36, 1, v42
	v_cvt_f32_f16_e32 v38, v43
	v_cvt_f32_f16_e32 v40, v56
	s_clause 0x2
	buffer_store_b64 v[11:12], v15, s[12:15], 0 offen
	buffer_store_b64 v[13:14], v35, s[12:15], 0 offen
	;; [unrolled: 1-line block ×3, first 2 shown]
	v_lshrrev_b32_e32 v14, 16, v50
	v_subrev_nc_u32_e32 v13, s2, v36
	v_dual_add_f32 v11, v29, v38 :: v_dual_add_f32 v12, v27, v40
	v_cvt_f32_f16_e32 v29, v50
	s_delay_alu instid0(VALU_DEP_4) | instskip(SKIP_1) | instid1(VALU_DEP_4)
	v_cvt_f32_f16_e32 v14, v14
	v_cvt_f16_f32_e32 v15, v52
	v_dual_max_f32 v11, 0, v11 :: v_dual_max_f32 v12, 0, v12
	v_cvt_f16_f32_e32 v27, v53
	s_delay_alu instid0(VALU_DEP_4) | instskip(SKIP_1) | instid1(VALU_DEP_3)
	v_dual_add_f32 v14, v31, v14 :: v_dual_add_f32 v29, v30, v29
	s_and_b32 s1, s1, vcc_lo
	v_cvt_f16_f32_e32 v33, v11
	v_cvt_f16_f32_e32 v12, v12
	v_lshlrev_b32_e32 v34, 1, v13
	v_cndmask_b32_e64 v30, 0x80000000, 0, s1
	v_pack_b32_f16 v11, v15, v27
	v_dual_max_f32 v14, 0, v14 :: v_dual_max_f32 v15, 0, v29
	v_pack_b32_f16 v12, v12, v33
	s_delay_alu instid0(VALU_DEP_4) | instskip(SKIP_1) | instid1(VALU_DEP_4)
	v_add_nc_u32_e32 v27, v34, v30
	v_lshrrev_b32_e32 v31, 16, v66
	v_cvt_f16_f32_e32 v14, v14
	v_cvt_f16_f32_e32 v15, v15
	v_cmp_gt_i32_e64 s1, s10, v72
	buffer_store_b64 v[11:12], v27, s[12:15], 0 offen
	v_cvt_f16_f32_e32 v29, v49
	v_cvt_f16_f32_e32 v30, v48
	v_pack_b32_f16 v12, v15, v14
	v_cvt_f32_f16_e32 v14, v31
	v_cvt_f32_f16_e32 v15, v66
	s_and_b32 s3, s1, vcc_lo
	v_cvt_f32_f16_e32 v33, v54
	v_cndmask_b32_e64 v27, 0x80000000, 0, s3
	s_delay_alu instid0(VALU_DEP_3) | instskip(SKIP_2) | instid1(VALU_DEP_2)
	v_dual_add_f32 v14, v24, v14 :: v_dual_add_f32 v15, v39, v15
	s_lshl_b32 s3, s24, 7
	s_and_b32 s1, s1, s0
	v_add3_u32 v24, v27, s3, v34
	v_lshl_add_u32 v27, s4, 6, v13
	v_dual_max_f32 v13, 0, v14 :: v_dual_max_f32 v14, 0, v15
	v_lshrrev_b32_e32 v15, 16, v54
	v_pack_b32_f16 v11, v29, v30
	v_cvt_f16_f32_e32 v29, v61
	v_cvt_f16_f32_e32 v30, v78
	v_cndmask_b32_e64 v34, 0x80000000, 0, s1
	v_cvt_f32_f16_e32 v15, v15
	v_add_f32_e32 v28, v28, v33
	v_cvt_f16_f32_e32 v31, v13
	v_cvt_f16_f32_e32 v14, v14
	v_pack_b32_f16 v13, v29, v30
	v_add_f32_e32 v15, v32, v15
	v_lshl_add_u32 v29, v27, 1, v34
	v_subrev_nc_u32_e32 v30, s24, v27
	v_max_f32_e32 v27, 0, v28
	v_pack_b32_f16 v14, v14, v31
	v_max_f32_e32 v15, 0, v15
	v_cvt_f16_f32_e32 v28, v63
	v_cvt_f16_f32_e32 v31, v93
	;; [unrolled: 1-line block ×3, first 2 shown]
	v_lshrrev_b32_e32 v33, 16, v59
	v_cvt_f16_f32_e32 v15, v15
	s_clause 0x1
	buffer_store_b64 v[11:12], v24, s[12:15], 0 offen
	buffer_store_b64 v[13:14], v29, s[12:15], 0 offen
	v_pack_b32_f16 v27, v28, v31
	v_cvt_f32_f16_e32 v31, v59
	v_lshrrev_b32_e32 v24, 16, v58
	v_pack_b32_f16 v28, v32, v15
	v_cvt_f32_f16_e32 v15, v33
	v_cmp_ge_i32_e64 s1, s10, v72
	v_add_f32_e32 v12, v25, v31
	v_cvt_f16_f32_e32 v14, v51
	v_cvt_f32_f16_e32 v24, v24
	v_add_f32_e32 v11, v26, v15
	v_cvt_f16_f32_e32 v15, v91
	v_max_f32_e32 v12, 0, v12
	v_cvt_f32_f16_e32 v26, v58
	s_and_b32 s1, s1, s0
	v_max_f32_e32 v11, 0, v11
	v_cndmask_b32_e64 v34, 0x80000000, 0, s1
	v_cvt_f16_f32_e32 v12, v12
	v_cmp_gt_i32_e64 s1, s10, v10
	v_subrev_nc_u32_e32 v13, s2, v30
	v_cvt_f16_f32_e32 v25, v11
	v_pack_b32_f16 v11, v14, v15
	v_dual_add_f32 v14, v21, v24 :: v_dual_add_f32 v15, v20, v26
	v_lshl_add_u32 v32, v30, 1, v34
	s_delay_alu instid0(VALU_DEP_4) | instskip(SKIP_1) | instid1(VALU_DEP_4)
	v_pack_b32_f16 v12, v12, v25
	v_lshrrev_b32_e32 v25, 16, v9
	v_dual_max_f32 v14, 0, v14 :: v_dual_max_f32 v15, 0, v15
	s_and_b32 s1, s1, vcc_lo
	buffer_store_b64 v[27:28], v32, s[12:15], 0 offen
	v_cndmask_b32_e64 v27, 0x80000000, 0, s1
	v_cmp_ge_i32_e64 s1, s10, v10
	v_cvt_f16_f32_e32 v10, v14
	v_cvt_f16_f32_e32 v14, v15
	v_cvt_f32_f16_e32 v15, v9
	v_cvt_f32_f16_e32 v25, v25
	s_and_b32 s1, s1, vcc_lo
	v_lshl_add_u32 v20, v13, 1, v27
	v_pack_b32_f16 v10, v14, v10
	s_delay_alu instid0(VALU_DEP_3)
	v_dual_add_f32 v15, v22, v15 :: v_dual_add_f32 v14, v23, v25
	v_cndmask_b32_e64 v26, 0x80000000, 0, s1
	v_cmp_gt_i32_e64 s1, s10, v4
	v_subrev_nc_u32_e32 v13, s24, v13
	v_cvt_f16_f32_e32 v21, v55
	v_cvt_f16_f32_e32 v24, v67
	v_dual_max_f32 v14, 0, v14 :: v_dual_max_f32 v15, 0, v15
	v_lshrrev_b32_e32 v23, 16, v5
	v_cvt_f32_f16_e32 v5, v5
	s_and_b32 s1, s1, s0
	v_pack_b32_f16 v9, v21, v24
	v_lshl_add_u32 v21, v13, 1, v26
	v_add_nc_u32_e32 v22, s2, v13
	v_cvt_f16_f32_e32 v13, v73
	v_cvt_f16_f32_e32 v14, v14
	;; [unrolled: 1-line block ×3, first 2 shown]
	v_cvt_f32_f16_e32 v23, v23
	v_cndmask_b32_e64 v24, 0x80000000, 0, s1
	v_add_f32_e32 v5, v18, v5
	v_lshrrev_b32_e32 v18, 16, v1
	v_pack_b32_f16 v13, v13, v8
	v_pack_b32_f16 v14, v15, v14
	v_add_f32_e32 v8, v19, v23
	v_lshl_add_u32 v15, v22, 1, v24
	v_subrev_nc_u32_e32 v19, s24, v22
	v_max_f32_e32 v22, 0, v5
	v_pack_b32_f16 v5, v6, v7
	v_cvt_f32_f16_e32 v7, v18
	v_cvt_f32_f16_e32 v1, v1
	v_cmp_ge_i32_e64 s1, s10, v4
	v_cmp_gt_i32_e64 s2, s10, v0
	s_delay_alu instid0(VALU_DEP_4) | instskip(NEXT) | instid1(VALU_DEP_4)
	v_dual_max_f32 v8, 0, v8 :: v_dual_add_f32 v7, v17, v7
	v_add_f32_e32 v1, v16, v1
	s_delay_alu instid0(VALU_DEP_4)
	s_and_b32 s0, s1, s0
	v_lshlrev_b32_e32 v4, 1, v19
	v_cndmask_b32_e64 v0, 0x80000000, 0, s0
	s_and_b32 s0, s2, vcc_lo
	v_max_f32_e32 v7, 0, v7
	v_max_f32_e32 v1, 0, v1
	v_cndmask_b32_e64 v16, 0x80000000, 0, s0
	s_lshl_b32 s0, s25, 7
	v_cvt_f16_f32_e32 v6, v8
	v_cvt_f16_f32_e32 v8, v22
	;; [unrolled: 1-line block ×4, first 2 shown]
	v_subrev_nc_u32_e32 v16, s0, v16
	s_delay_alu instid0(VALU_DEP_4) | instskip(SKIP_2) | instid1(VALU_DEP_4)
	v_pack_b32_f16 v6, v8, v6
	v_add_nc_u32_e32 v8, v4, v0
	v_pack_b32_f16 v0, v3, v2
	v_add_nc_u32_e32 v2, v16, v4
	v_pack_b32_f16 v1, v1, v7
	s_clause 0x4
	buffer_store_b64 v[11:12], v20, s[12:15], 0 offen
	buffer_store_b64 v[9:10], v21, s[12:15], 0 offen
	;; [unrolled: 1-line block ×5, first 2 shown]
	s_nop 0
	s_sendmsg sendmsg(MSG_DEALLOC_VGPRS)
	s_endpgm
	.section	.rodata,"a",@progbits
	.p2align	6, 0x0
	.amdhsa_kernel _ZN2ck16tensor_operation6device12_GLOBAL__N_137kernel_grouped_conv_fwd_dl_multiple_dINS_32GridwiseGemmDlMultipleD_km_kn_mnILi256EDF16_fNS_5TupleIJDF16_EEEDF16_NS0_12element_wise11PassThroughES8_NS7_7AddReluELNS_25InMemoryDataOperationEnumE0ENS_16TensorDescriptorINS5_IJNS_5EmbedINS5_IJiiiiEEESD_Lb0EEENS_11PassThroughIiEENS_3PadIiiiLb0EEESI_SG_SG_NSC_INS5_IJiiEEESJ_Lb0EEESK_SG_NS_23Merge_v2_magic_divisionINS5_IJiiiEEEEESN_NS_8RightPadIiiLb0EEESP_NS_7UnMergeISJ_Lb0EEESG_EEENS5_IJNS_8SequenceIJLi0EEEENST_IJLi1EEEENST_IJLi2EEEENST_IJLi3EEEENST_IJLi4EEEENST_IJLi5EEEENST_IJLi6EEEENST_IJLi7EEEENST_IJLi8EEEENST_IJLi9ELi11ELi13EEEENST_IJLi10ELi12ELi14EEEENST_IJLi15EEEENST_IJLi16EEEENST_IJLi18EEEENST_IJLi17EEEEEEENS5_IJNST_IJLi1ELi2ELi3ELi4EEEESZ_S10_S11_S12_NST_IJLi9EEEENST_IJLi10ELi11EEEENST_IJLi12ELi13EEEENST_IJLi14EEEES15_S16_S18_S17_NST_IJLi19ELi20EEEENST_IJLi21EEEEEEENST_IJLi19ELi21ELi20EEEElEENSB_INS5_IJSR_SP_SP_SR_SG_EEENS5_IJSU_SV_SW_SY_SX_EEENS5_IJNST_IJLi1ELi2EEEESX_SY_NST_IJLi5ELi6EEEES11_EEENST_IJLi5ELi7ELi6EEEElEENSB_INS5_IJSK_SP_SP_EEENS5_IJSU_SV_SW_EEENS5_IJS1M_SX_SY_EEENST_IJLi3ELi4EEEElEELi128ELi128ELi16ELi2ELi4ELi4ELi1ENST_IJLi8ELi2EEEES1W_NST_IJLi8ELi1ELi1ELi2EEEENST_IJLi2ELi1ELi128ELi1EEEENST_IJLi1ELi2ELi0ELi3EEEES1Z_NST_IJLi4ELi1ELi1ELi2EEEES1Z_NST_IJLi1ELi1ELi1ELi2EEEES1X_S1Y_S1Z_S1Z_S20_S1Z_S21_NST_IJLi0ELi1ELi2ELi3ELi4ELi5EEEELi5ELi4EEEDF16_NS5_IJPKDF16_EEEDF16_S8_S8_S9_NSB_INS5_IJSE_SG_SI_SI_SG_SG_SK_SK_SG_SN_SN_SP_SP_SR_SG_SG_NSQ_INS5_IJiNS_17integral_constantIiLi128EEEEEELb0EEENSF_INS27_IiLi2EEEEEEEENS5_IJSU_SV_SW_SX_SY_SZ_S10_S11_S12_S13_S14_S15_S16_S17_S18_NST_IJLi19EEEES1G_NST_IJLi20EEEEEEENS5_IJS1A_SZ_S10_S11_S12_S1B_S1C_S1D_S1E_S15_S16_S18_S17_S1F_S1G_NST_IJLi22EEEENST_IJLi23ELi24EEEENST_IJLi25EEEEEEENST_IJLi22ELi23ELi24ELi25EEEElEENSB_INS5_IJSR_SP_SP_SR_SG_SG_S2A_S2C_EEENS5_IJSU_SV_SW_SY_SX_SZ_S11_S10_EEENS5_IJS1M_SX_SY_S1N_S11_S12_NST_IJLi9ELi10EEEENST_IJLi11EEEEEEENST_IJLi8ELi9ELi10ELi11EEEElEENS5_IJNSB_INS5_IJSK_SP_SP_NSQ_INS5_IJiS2B_NS27_IiLi64EEEEEELb0EEES2W_EEENS5_IJSU_SV_SW_SX_SY_EEENS5_IJS1M_SX_SY_NST_IJLi5ELi6ELi7EEEENST_IJLi8ELi9ELi10EEEEEEENST_IJLi5ELi6ELi7ELi8ELi9ELi10EEEElEEEEES33_NS_31BlockToCTileMap_M00_N00_M01_N01ILi128ELi128ES1V_Lb0EEENS1_30ComputePtrOffsetOfStridedBatchILi1ELi1ELi1EvEELb0ELb0EEEvPKT0_S3B_T1_PT2_T3_T4_T5_iT6_T7_T8_T9_T10_T11_
		.amdhsa_group_segment_fixed_size 32768
		.amdhsa_private_segment_fixed_size 0
		.amdhsa_kernarg_size 968
		.amdhsa_user_sgpr_count 15
		.amdhsa_user_sgpr_dispatch_ptr 0
		.amdhsa_user_sgpr_queue_ptr 0
		.amdhsa_user_sgpr_kernarg_segment_ptr 1
		.amdhsa_user_sgpr_dispatch_id 0
		.amdhsa_user_sgpr_private_segment_size 0
		.amdhsa_wavefront_size32 1
		.amdhsa_uses_dynamic_stack 0
		.amdhsa_enable_private_segment 0
		.amdhsa_system_sgpr_workgroup_id_x 1
		.amdhsa_system_sgpr_workgroup_id_y 0
		.amdhsa_system_sgpr_workgroup_id_z 0
		.amdhsa_system_sgpr_workgroup_info 0
		.amdhsa_system_vgpr_workitem_id 0
		.amdhsa_next_free_vgpr 136
		.amdhsa_next_free_sgpr 58
		.amdhsa_reserve_vcc 1
		.amdhsa_float_round_mode_32 0
		.amdhsa_float_round_mode_16_64 0
		.amdhsa_float_denorm_mode_32 3
		.amdhsa_float_denorm_mode_16_64 3
		.amdhsa_dx10_clamp 1
		.amdhsa_ieee_mode 1
		.amdhsa_fp16_overflow 0
		.amdhsa_workgroup_processor_mode 1
		.amdhsa_memory_ordered 1
		.amdhsa_forward_progress 0
		.amdhsa_shared_vgpr_count 0
		.amdhsa_exception_fp_ieee_invalid_op 0
		.amdhsa_exception_fp_denorm_src 0
		.amdhsa_exception_fp_ieee_div_zero 0
		.amdhsa_exception_fp_ieee_overflow 0
		.amdhsa_exception_fp_ieee_underflow 0
		.amdhsa_exception_fp_ieee_inexact 0
		.amdhsa_exception_int_div_zero 0
	.end_amdhsa_kernel
	.section	.text._ZN2ck16tensor_operation6device12_GLOBAL__N_137kernel_grouped_conv_fwd_dl_multiple_dINS_32GridwiseGemmDlMultipleD_km_kn_mnILi256EDF16_fNS_5TupleIJDF16_EEEDF16_NS0_12element_wise11PassThroughES8_NS7_7AddReluELNS_25InMemoryDataOperationEnumE0ENS_16TensorDescriptorINS5_IJNS_5EmbedINS5_IJiiiiEEESD_Lb0EEENS_11PassThroughIiEENS_3PadIiiiLb0EEESI_SG_SG_NSC_INS5_IJiiEEESJ_Lb0EEESK_SG_NS_23Merge_v2_magic_divisionINS5_IJiiiEEEEESN_NS_8RightPadIiiLb0EEESP_NS_7UnMergeISJ_Lb0EEESG_EEENS5_IJNS_8SequenceIJLi0EEEENST_IJLi1EEEENST_IJLi2EEEENST_IJLi3EEEENST_IJLi4EEEENST_IJLi5EEEENST_IJLi6EEEENST_IJLi7EEEENST_IJLi8EEEENST_IJLi9ELi11ELi13EEEENST_IJLi10ELi12ELi14EEEENST_IJLi15EEEENST_IJLi16EEEENST_IJLi18EEEENST_IJLi17EEEEEEENS5_IJNST_IJLi1ELi2ELi3ELi4EEEESZ_S10_S11_S12_NST_IJLi9EEEENST_IJLi10ELi11EEEENST_IJLi12ELi13EEEENST_IJLi14EEEES15_S16_S18_S17_NST_IJLi19ELi20EEEENST_IJLi21EEEEEEENST_IJLi19ELi21ELi20EEEElEENSB_INS5_IJSR_SP_SP_SR_SG_EEENS5_IJSU_SV_SW_SY_SX_EEENS5_IJNST_IJLi1ELi2EEEESX_SY_NST_IJLi5ELi6EEEES11_EEENST_IJLi5ELi7ELi6EEEElEENSB_INS5_IJSK_SP_SP_EEENS5_IJSU_SV_SW_EEENS5_IJS1M_SX_SY_EEENST_IJLi3ELi4EEEElEELi128ELi128ELi16ELi2ELi4ELi4ELi1ENST_IJLi8ELi2EEEES1W_NST_IJLi8ELi1ELi1ELi2EEEENST_IJLi2ELi1ELi128ELi1EEEENST_IJLi1ELi2ELi0ELi3EEEES1Z_NST_IJLi4ELi1ELi1ELi2EEEES1Z_NST_IJLi1ELi1ELi1ELi2EEEES1X_S1Y_S1Z_S1Z_S20_S1Z_S21_NST_IJLi0ELi1ELi2ELi3ELi4ELi5EEEELi5ELi4EEEDF16_NS5_IJPKDF16_EEEDF16_S8_S8_S9_NSB_INS5_IJSE_SG_SI_SI_SG_SG_SK_SK_SG_SN_SN_SP_SP_SR_SG_SG_NSQ_INS5_IJiNS_17integral_constantIiLi128EEEEEELb0EEENSF_INS27_IiLi2EEEEEEEENS5_IJSU_SV_SW_SX_SY_SZ_S10_S11_S12_S13_S14_S15_S16_S17_S18_NST_IJLi19EEEES1G_NST_IJLi20EEEEEEENS5_IJS1A_SZ_S10_S11_S12_S1B_S1C_S1D_S1E_S15_S16_S18_S17_S1F_S1G_NST_IJLi22EEEENST_IJLi23ELi24EEEENST_IJLi25EEEEEEENST_IJLi22ELi23ELi24ELi25EEEElEENSB_INS5_IJSR_SP_SP_SR_SG_SG_S2A_S2C_EEENS5_IJSU_SV_SW_SY_SX_SZ_S11_S10_EEENS5_IJS1M_SX_SY_S1N_S11_S12_NST_IJLi9ELi10EEEENST_IJLi11EEEEEEENST_IJLi8ELi9ELi10ELi11EEEElEENS5_IJNSB_INS5_IJSK_SP_SP_NSQ_INS5_IJiS2B_NS27_IiLi64EEEEEELb0EEES2W_EEENS5_IJSU_SV_SW_SX_SY_EEENS5_IJS1M_SX_SY_NST_IJLi5ELi6ELi7EEEENST_IJLi8ELi9ELi10EEEEEEENST_IJLi5ELi6ELi7ELi8ELi9ELi10EEEElEEEEES33_NS_31BlockToCTileMap_M00_N00_M01_N01ILi128ELi128ES1V_Lb0EEENS1_30ComputePtrOffsetOfStridedBatchILi1ELi1ELi1EvEELb0ELb0EEEvPKT0_S3B_T1_PT2_T3_T4_T5_iT6_T7_T8_T9_T10_T11_,"axG",@progbits,_ZN2ck16tensor_operation6device12_GLOBAL__N_137kernel_grouped_conv_fwd_dl_multiple_dINS_32GridwiseGemmDlMultipleD_km_kn_mnILi256EDF16_fNS_5TupleIJDF16_EEEDF16_NS0_12element_wise11PassThroughES8_NS7_7AddReluELNS_25InMemoryDataOperationEnumE0ENS_16TensorDescriptorINS5_IJNS_5EmbedINS5_IJiiiiEEESD_Lb0EEENS_11PassThroughIiEENS_3PadIiiiLb0EEESI_SG_SG_NSC_INS5_IJiiEEESJ_Lb0EEESK_SG_NS_23Merge_v2_magic_divisionINS5_IJiiiEEEEESN_NS_8RightPadIiiLb0EEESP_NS_7UnMergeISJ_Lb0EEESG_EEENS5_IJNS_8SequenceIJLi0EEEENST_IJLi1EEEENST_IJLi2EEEENST_IJLi3EEEENST_IJLi4EEEENST_IJLi5EEEENST_IJLi6EEEENST_IJLi7EEEENST_IJLi8EEEENST_IJLi9ELi11ELi13EEEENST_IJLi10ELi12ELi14EEEENST_IJLi15EEEENST_IJLi16EEEENST_IJLi18EEEENST_IJLi17EEEEEEENS5_IJNST_IJLi1ELi2ELi3ELi4EEEESZ_S10_S11_S12_NST_IJLi9EEEENST_IJLi10ELi11EEEENST_IJLi12ELi13EEEENST_IJLi14EEEES15_S16_S18_S17_NST_IJLi19ELi20EEEENST_IJLi21EEEEEEENST_IJLi19ELi21ELi20EEEElEENSB_INS5_IJSR_SP_SP_SR_SG_EEENS5_IJSU_SV_SW_SY_SX_EEENS5_IJNST_IJLi1ELi2EEEESX_SY_NST_IJLi5ELi6EEEES11_EEENST_IJLi5ELi7ELi6EEEElEENSB_INS5_IJSK_SP_SP_EEENS5_IJSU_SV_SW_EEENS5_IJS1M_SX_SY_EEENST_IJLi3ELi4EEEElEELi128ELi128ELi16ELi2ELi4ELi4ELi1ENST_IJLi8ELi2EEEES1W_NST_IJLi8ELi1ELi1ELi2EEEENST_IJLi2ELi1ELi128ELi1EEEENST_IJLi1ELi2ELi0ELi3EEEES1Z_NST_IJLi4ELi1ELi1ELi2EEEES1Z_NST_IJLi1ELi1ELi1ELi2EEEES1X_S1Y_S1Z_S1Z_S20_S1Z_S21_NST_IJLi0ELi1ELi2ELi3ELi4ELi5EEEELi5ELi4EEEDF16_NS5_IJPKDF16_EEEDF16_S8_S8_S9_NSB_INS5_IJSE_SG_SI_SI_SG_SG_SK_SK_SG_SN_SN_SP_SP_SR_SG_SG_NSQ_INS5_IJiNS_17integral_constantIiLi128EEEEEELb0EEENSF_INS27_IiLi2EEEEEEEENS5_IJSU_SV_SW_SX_SY_SZ_S10_S11_S12_S13_S14_S15_S16_S17_S18_NST_IJLi19EEEES1G_NST_IJLi20EEEEEEENS5_IJS1A_SZ_S10_S11_S12_S1B_S1C_S1D_S1E_S15_S16_S18_S17_S1F_S1G_NST_IJLi22EEEENST_IJLi23ELi24EEEENST_IJLi25EEEEEEENST_IJLi22ELi23ELi24ELi25EEEElEENSB_INS5_IJSR_SP_SP_SR_SG_SG_S2A_S2C_EEENS5_IJSU_SV_SW_SY_SX_SZ_S11_S10_EEENS5_IJS1M_SX_SY_S1N_S11_S12_NST_IJLi9ELi10EEEENST_IJLi11EEEEEEENST_IJLi8ELi9ELi10ELi11EEEElEENS5_IJNSB_INS5_IJSK_SP_SP_NSQ_INS5_IJiS2B_NS27_IiLi64EEEEEELb0EEES2W_EEENS5_IJSU_SV_SW_SX_SY_EEENS5_IJS1M_SX_SY_NST_IJLi5ELi6ELi7EEEENST_IJLi8ELi9ELi10EEEEEEENST_IJLi5ELi6ELi7ELi8ELi9ELi10EEEElEEEEES33_NS_31BlockToCTileMap_M00_N00_M01_N01ILi128ELi128ES1V_Lb0EEENS1_30ComputePtrOffsetOfStridedBatchILi1ELi1ELi1EvEELb0ELb0EEEvPKT0_S3B_T1_PT2_T3_T4_T5_iT6_T7_T8_T9_T10_T11_,comdat
.Lfunc_end8:
	.size	_ZN2ck16tensor_operation6device12_GLOBAL__N_137kernel_grouped_conv_fwd_dl_multiple_dINS_32GridwiseGemmDlMultipleD_km_kn_mnILi256EDF16_fNS_5TupleIJDF16_EEEDF16_NS0_12element_wise11PassThroughES8_NS7_7AddReluELNS_25InMemoryDataOperationEnumE0ENS_16TensorDescriptorINS5_IJNS_5EmbedINS5_IJiiiiEEESD_Lb0EEENS_11PassThroughIiEENS_3PadIiiiLb0EEESI_SG_SG_NSC_INS5_IJiiEEESJ_Lb0EEESK_SG_NS_23Merge_v2_magic_divisionINS5_IJiiiEEEEESN_NS_8RightPadIiiLb0EEESP_NS_7UnMergeISJ_Lb0EEESG_EEENS5_IJNS_8SequenceIJLi0EEEENST_IJLi1EEEENST_IJLi2EEEENST_IJLi3EEEENST_IJLi4EEEENST_IJLi5EEEENST_IJLi6EEEENST_IJLi7EEEENST_IJLi8EEEENST_IJLi9ELi11ELi13EEEENST_IJLi10ELi12ELi14EEEENST_IJLi15EEEENST_IJLi16EEEENST_IJLi18EEEENST_IJLi17EEEEEEENS5_IJNST_IJLi1ELi2ELi3ELi4EEEESZ_S10_S11_S12_NST_IJLi9EEEENST_IJLi10ELi11EEEENST_IJLi12ELi13EEEENST_IJLi14EEEES15_S16_S18_S17_NST_IJLi19ELi20EEEENST_IJLi21EEEEEEENST_IJLi19ELi21ELi20EEEElEENSB_INS5_IJSR_SP_SP_SR_SG_EEENS5_IJSU_SV_SW_SY_SX_EEENS5_IJNST_IJLi1ELi2EEEESX_SY_NST_IJLi5ELi6EEEES11_EEENST_IJLi5ELi7ELi6EEEElEENSB_INS5_IJSK_SP_SP_EEENS5_IJSU_SV_SW_EEENS5_IJS1M_SX_SY_EEENST_IJLi3ELi4EEEElEELi128ELi128ELi16ELi2ELi4ELi4ELi1ENST_IJLi8ELi2EEEES1W_NST_IJLi8ELi1ELi1ELi2EEEENST_IJLi2ELi1ELi128ELi1EEEENST_IJLi1ELi2ELi0ELi3EEEES1Z_NST_IJLi4ELi1ELi1ELi2EEEES1Z_NST_IJLi1ELi1ELi1ELi2EEEES1X_S1Y_S1Z_S1Z_S20_S1Z_S21_NST_IJLi0ELi1ELi2ELi3ELi4ELi5EEEELi5ELi4EEEDF16_NS5_IJPKDF16_EEEDF16_S8_S8_S9_NSB_INS5_IJSE_SG_SI_SI_SG_SG_SK_SK_SG_SN_SN_SP_SP_SR_SG_SG_NSQ_INS5_IJiNS_17integral_constantIiLi128EEEEEELb0EEENSF_INS27_IiLi2EEEEEEEENS5_IJSU_SV_SW_SX_SY_SZ_S10_S11_S12_S13_S14_S15_S16_S17_S18_NST_IJLi19EEEES1G_NST_IJLi20EEEEEEENS5_IJS1A_SZ_S10_S11_S12_S1B_S1C_S1D_S1E_S15_S16_S18_S17_S1F_S1G_NST_IJLi22EEEENST_IJLi23ELi24EEEENST_IJLi25EEEEEEENST_IJLi22ELi23ELi24ELi25EEEElEENSB_INS5_IJSR_SP_SP_SR_SG_SG_S2A_S2C_EEENS5_IJSU_SV_SW_SY_SX_SZ_S11_S10_EEENS5_IJS1M_SX_SY_S1N_S11_S12_NST_IJLi9ELi10EEEENST_IJLi11EEEEEEENST_IJLi8ELi9ELi10ELi11EEEElEENS5_IJNSB_INS5_IJSK_SP_SP_NSQ_INS5_IJiS2B_NS27_IiLi64EEEEEELb0EEES2W_EEENS5_IJSU_SV_SW_SX_SY_EEENS5_IJS1M_SX_SY_NST_IJLi5ELi6ELi7EEEENST_IJLi8ELi9ELi10EEEEEEENST_IJLi5ELi6ELi7ELi8ELi9ELi10EEEElEEEEES33_NS_31BlockToCTileMap_M00_N00_M01_N01ILi128ELi128ES1V_Lb0EEENS1_30ComputePtrOffsetOfStridedBatchILi1ELi1ELi1EvEELb0ELb0EEEvPKT0_S3B_T1_PT2_T3_T4_T5_iT6_T7_T8_T9_T10_T11_, .Lfunc_end8-_ZN2ck16tensor_operation6device12_GLOBAL__N_137kernel_grouped_conv_fwd_dl_multiple_dINS_32GridwiseGemmDlMultipleD_km_kn_mnILi256EDF16_fNS_5TupleIJDF16_EEEDF16_NS0_12element_wise11PassThroughES8_NS7_7AddReluELNS_25InMemoryDataOperationEnumE0ENS_16TensorDescriptorINS5_IJNS_5EmbedINS5_IJiiiiEEESD_Lb0EEENS_11PassThroughIiEENS_3PadIiiiLb0EEESI_SG_SG_NSC_INS5_IJiiEEESJ_Lb0EEESK_SG_NS_23Merge_v2_magic_divisionINS5_IJiiiEEEEESN_NS_8RightPadIiiLb0EEESP_NS_7UnMergeISJ_Lb0EEESG_EEENS5_IJNS_8SequenceIJLi0EEEENST_IJLi1EEEENST_IJLi2EEEENST_IJLi3EEEENST_IJLi4EEEENST_IJLi5EEEENST_IJLi6EEEENST_IJLi7EEEENST_IJLi8EEEENST_IJLi9ELi11ELi13EEEENST_IJLi10ELi12ELi14EEEENST_IJLi15EEEENST_IJLi16EEEENST_IJLi18EEEENST_IJLi17EEEEEEENS5_IJNST_IJLi1ELi2ELi3ELi4EEEESZ_S10_S11_S12_NST_IJLi9EEEENST_IJLi10ELi11EEEENST_IJLi12ELi13EEEENST_IJLi14EEEES15_S16_S18_S17_NST_IJLi19ELi20EEEENST_IJLi21EEEEEEENST_IJLi19ELi21ELi20EEEElEENSB_INS5_IJSR_SP_SP_SR_SG_EEENS5_IJSU_SV_SW_SY_SX_EEENS5_IJNST_IJLi1ELi2EEEESX_SY_NST_IJLi5ELi6EEEES11_EEENST_IJLi5ELi7ELi6EEEElEENSB_INS5_IJSK_SP_SP_EEENS5_IJSU_SV_SW_EEENS5_IJS1M_SX_SY_EEENST_IJLi3ELi4EEEElEELi128ELi128ELi16ELi2ELi4ELi4ELi1ENST_IJLi8ELi2EEEES1W_NST_IJLi8ELi1ELi1ELi2EEEENST_IJLi2ELi1ELi128ELi1EEEENST_IJLi1ELi2ELi0ELi3EEEES1Z_NST_IJLi4ELi1ELi1ELi2EEEES1Z_NST_IJLi1ELi1ELi1ELi2EEEES1X_S1Y_S1Z_S1Z_S20_S1Z_S21_NST_IJLi0ELi1ELi2ELi3ELi4ELi5EEEELi5ELi4EEEDF16_NS5_IJPKDF16_EEEDF16_S8_S8_S9_NSB_INS5_IJSE_SG_SI_SI_SG_SG_SK_SK_SG_SN_SN_SP_SP_SR_SG_SG_NSQ_INS5_IJiNS_17integral_constantIiLi128EEEEEELb0EEENSF_INS27_IiLi2EEEEEEEENS5_IJSU_SV_SW_SX_SY_SZ_S10_S11_S12_S13_S14_S15_S16_S17_S18_NST_IJLi19EEEES1G_NST_IJLi20EEEEEEENS5_IJS1A_SZ_S10_S11_S12_S1B_S1C_S1D_S1E_S15_S16_S18_S17_S1F_S1G_NST_IJLi22EEEENST_IJLi23ELi24EEEENST_IJLi25EEEEEEENST_IJLi22ELi23ELi24ELi25EEEElEENSB_INS5_IJSR_SP_SP_SR_SG_SG_S2A_S2C_EEENS5_IJSU_SV_SW_SY_SX_SZ_S11_S10_EEENS5_IJS1M_SX_SY_S1N_S11_S12_NST_IJLi9ELi10EEEENST_IJLi11EEEEEEENST_IJLi8ELi9ELi10ELi11EEEElEENS5_IJNSB_INS5_IJSK_SP_SP_NSQ_INS5_IJiS2B_NS27_IiLi64EEEEEELb0EEES2W_EEENS5_IJSU_SV_SW_SX_SY_EEENS5_IJS1M_SX_SY_NST_IJLi5ELi6ELi7EEEENST_IJLi8ELi9ELi10EEEEEEENST_IJLi5ELi6ELi7ELi8ELi9ELi10EEEElEEEEES33_NS_31BlockToCTileMap_M00_N00_M01_N01ILi128ELi128ES1V_Lb0EEENS1_30ComputePtrOffsetOfStridedBatchILi1ELi1ELi1EvEELb0ELb0EEEvPKT0_S3B_T1_PT2_T3_T4_T5_iT6_T7_T8_T9_T10_T11_
                                        ; -- End function
	.section	.AMDGPU.csdata,"",@progbits
; Kernel info:
; codeLenInByte = 9868
; NumSgprs: 60
; NumVgprs: 136
; ScratchSize: 0
; MemoryBound: 0
; FloatMode: 240
; IeeeMode: 1
; LDSByteSize: 32768 bytes/workgroup (compile time only)
; SGPRBlocks: 7
; VGPRBlocks: 16
; NumSGPRsForWavesPerEU: 60
; NumVGPRsForWavesPerEU: 136
; Occupancy: 8
; WaveLimiterHint : 0
; COMPUTE_PGM_RSRC2:SCRATCH_EN: 0
; COMPUTE_PGM_RSRC2:USER_SGPR: 15
; COMPUTE_PGM_RSRC2:TRAP_HANDLER: 0
; COMPUTE_PGM_RSRC2:TGID_X_EN: 1
; COMPUTE_PGM_RSRC2:TGID_Y_EN: 0
; COMPUTE_PGM_RSRC2:TGID_Z_EN: 0
; COMPUTE_PGM_RSRC2:TIDIG_COMP_CNT: 0
	.section	.text._ZN2ck16tensor_operation6device12_GLOBAL__N_137kernel_grouped_conv_fwd_dl_multiple_dINS_32GridwiseGemmDlMultipleD_km_kn_mnILi256EDF16_fNS_5TupleIJDF16_EEEDF16_NS0_12element_wise11PassThroughES8_NS7_7AddReluELNS_25InMemoryDataOperationEnumE0ENS_16TensorDescriptorINS5_IJNS_5EmbedINS5_IJiiiiiEEESD_Lb0EEENS_11PassThroughIiEENS_3PadIiiiLb0EEESI_SI_SG_SG_NSC_INS5_IJiiEEESJ_Lb0EEESK_SK_SG_NS_23Merge_v2_magic_divisionINS5_IJiiiiEEEEESN_NS_8RightPadIiiLb0EEESP_NS_7UnMergeISJ_Lb0EEESG_EEENS5_IJNS_8SequenceIJLi0EEEENST_IJLi1EEEENST_IJLi2EEEENST_IJLi3EEEENST_IJLi4EEEENST_IJLi5EEEENST_IJLi6EEEENST_IJLi7EEEENST_IJLi8EEEENST_IJLi9EEEENST_IJLi10EEEENST_IJLi11ELi13ELi15ELi17EEEENST_IJLi12ELi14ELi16ELi18EEEENST_IJLi19EEEENST_IJLi20EEEENST_IJLi22EEEENST_IJLi21EEEEEEENS5_IJNST_IJLi1ELi2ELi3ELi4ELi5EEEES10_S11_S12_S13_S14_NST_IJLi11EEEENST_IJLi12ELi13EEEENST_IJLi14ELi15EEEENST_IJLi16ELi17EEEENST_IJLi18EEEES17_S18_S1A_S19_NST_IJLi23ELi24EEEENST_IJLi25EEEEEEENST_IJLi23ELi25ELi24EEEElEENSB_INS5_IJSR_SP_SP_SR_SG_EEENS5_IJSU_SV_SW_SY_SX_EEENS5_IJNST_IJLi1ELi2EEEESX_SY_NST_IJLi5ELi6EEEES11_EEENST_IJLi5ELi7ELi6EEEElEENSB_INS5_IJSK_SP_SP_EEENS5_IJSU_SV_SW_EEENS5_IJS1P_SX_SY_EEENST_IJLi3ELi4EEEElEELi128ELi128ELi16ELi2ELi4ELi4ELi1ENST_IJLi8ELi2EEEES1Z_NST_IJLi8ELi1ELi1ELi2EEEENST_IJLi2ELi1ELi128ELi1EEEENST_IJLi1ELi2ELi0ELi3EEEES22_NST_IJLi4ELi1ELi1ELi2EEEES22_NST_IJLi1ELi1ELi1ELi2EEEES20_S21_S22_S22_S23_S22_S24_NST_IJLi0ELi1ELi2ELi3ELi4ELi5EEEELi5ELi4EEEDF16_NS5_IJPKDF16_EEEDF16_S8_S8_S9_NSB_INS5_IJSE_SG_SI_SI_SI_SG_SG_SK_SK_SK_SG_SN_SN_SP_SP_SR_SG_SG_NSQ_INS5_IJiNS_17integral_constantIiLi128EEEEEELb0EEENSF_INS2A_IiLi2EEEEEEEENS5_IJSU_SV_SW_SX_SY_SZ_S10_S11_S12_S13_S14_S15_S16_S17_S18_S19_S1A_NST_IJLi23EEEES1J_NST_IJLi24EEEEEEENS5_IJS1C_S10_S11_S12_S13_S14_S1D_S1E_S1F_S1G_S1H_S17_S18_S1A_S19_S1I_S1J_NST_IJLi26EEEENST_IJLi27ELi28EEEENST_IJLi29EEEEEEENST_IJLi26ELi27ELi28ELi29EEEElEENSB_INS5_IJSR_SP_SP_SR_SG_SG_S2D_S2F_EEENS5_IJSU_SV_SW_SY_SX_SZ_S11_S10_EEENS5_IJS1P_SX_SY_S1Q_S11_S12_NST_IJLi9ELi10EEEES1D_EEENST_IJLi8ELi9ELi10ELi11EEEElEENS5_IJNSB_INS5_IJSK_SP_SP_NSQ_INS5_IJiS2E_NS2A_IiLi64EEEEEELb0EEES2Y_EEENS5_IJSU_SV_SW_SX_SY_EEENS5_IJS1P_SX_SY_NST_IJLi5ELi6ELi7EEEENST_IJLi8ELi9ELi10EEEEEEENST_IJLi5ELi6ELi7ELi8ELi9ELi10EEEElEEEEES35_NS_31BlockToCTileMap_M00_N00_M01_N01ILi128ELi128ES1Y_Lb0EEENS1_30ComputePtrOffsetOfStridedBatchILi1ELi1ELi1EvEELb1ELb1EEEvPKT0_S3D_T1_PT2_T3_T4_T5_iT6_T7_T8_T9_T10_T11_,"axG",@progbits,_ZN2ck16tensor_operation6device12_GLOBAL__N_137kernel_grouped_conv_fwd_dl_multiple_dINS_32GridwiseGemmDlMultipleD_km_kn_mnILi256EDF16_fNS_5TupleIJDF16_EEEDF16_NS0_12element_wise11PassThroughES8_NS7_7AddReluELNS_25InMemoryDataOperationEnumE0ENS_16TensorDescriptorINS5_IJNS_5EmbedINS5_IJiiiiiEEESD_Lb0EEENS_11PassThroughIiEENS_3PadIiiiLb0EEESI_SI_SG_SG_NSC_INS5_IJiiEEESJ_Lb0EEESK_SK_SG_NS_23Merge_v2_magic_divisionINS5_IJiiiiEEEEESN_NS_8RightPadIiiLb0EEESP_NS_7UnMergeISJ_Lb0EEESG_EEENS5_IJNS_8SequenceIJLi0EEEENST_IJLi1EEEENST_IJLi2EEEENST_IJLi3EEEENST_IJLi4EEEENST_IJLi5EEEENST_IJLi6EEEENST_IJLi7EEEENST_IJLi8EEEENST_IJLi9EEEENST_IJLi10EEEENST_IJLi11ELi13ELi15ELi17EEEENST_IJLi12ELi14ELi16ELi18EEEENST_IJLi19EEEENST_IJLi20EEEENST_IJLi22EEEENST_IJLi21EEEEEEENS5_IJNST_IJLi1ELi2ELi3ELi4ELi5EEEES10_S11_S12_S13_S14_NST_IJLi11EEEENST_IJLi12ELi13EEEENST_IJLi14ELi15EEEENST_IJLi16ELi17EEEENST_IJLi18EEEES17_S18_S1A_S19_NST_IJLi23ELi24EEEENST_IJLi25EEEEEEENST_IJLi23ELi25ELi24EEEElEENSB_INS5_IJSR_SP_SP_SR_SG_EEENS5_IJSU_SV_SW_SY_SX_EEENS5_IJNST_IJLi1ELi2EEEESX_SY_NST_IJLi5ELi6EEEES11_EEENST_IJLi5ELi7ELi6EEEElEENSB_INS5_IJSK_SP_SP_EEENS5_IJSU_SV_SW_EEENS5_IJS1P_SX_SY_EEENST_IJLi3ELi4EEEElEELi128ELi128ELi16ELi2ELi4ELi4ELi1ENST_IJLi8ELi2EEEES1Z_NST_IJLi8ELi1ELi1ELi2EEEENST_IJLi2ELi1ELi128ELi1EEEENST_IJLi1ELi2ELi0ELi3EEEES22_NST_IJLi4ELi1ELi1ELi2EEEES22_NST_IJLi1ELi1ELi1ELi2EEEES20_S21_S22_S22_S23_S22_S24_NST_IJLi0ELi1ELi2ELi3ELi4ELi5EEEELi5ELi4EEEDF16_NS5_IJPKDF16_EEEDF16_S8_S8_S9_NSB_INS5_IJSE_SG_SI_SI_SI_SG_SG_SK_SK_SK_SG_SN_SN_SP_SP_SR_SG_SG_NSQ_INS5_IJiNS_17integral_constantIiLi128EEEEEELb0EEENSF_INS2A_IiLi2EEEEEEEENS5_IJSU_SV_SW_SX_SY_SZ_S10_S11_S12_S13_S14_S15_S16_S17_S18_S19_S1A_NST_IJLi23EEEES1J_NST_IJLi24EEEEEEENS5_IJS1C_S10_S11_S12_S13_S14_S1D_S1E_S1F_S1G_S1H_S17_S18_S1A_S19_S1I_S1J_NST_IJLi26EEEENST_IJLi27ELi28EEEENST_IJLi29EEEEEEENST_IJLi26ELi27ELi28ELi29EEEElEENSB_INS5_IJSR_SP_SP_SR_SG_SG_S2D_S2F_EEENS5_IJSU_SV_SW_SY_SX_SZ_S11_S10_EEENS5_IJS1P_SX_SY_S1Q_S11_S12_NST_IJLi9ELi10EEEES1D_EEENST_IJLi8ELi9ELi10ELi11EEEElEENS5_IJNSB_INS5_IJSK_SP_SP_NSQ_INS5_IJiS2E_NS2A_IiLi64EEEEEELb0EEES2Y_EEENS5_IJSU_SV_SW_SX_SY_EEENS5_IJS1P_SX_SY_NST_IJLi5ELi6ELi7EEEENST_IJLi8ELi9ELi10EEEEEEENST_IJLi5ELi6ELi7ELi8ELi9ELi10EEEElEEEEES35_NS_31BlockToCTileMap_M00_N00_M01_N01ILi128ELi128ES1Y_Lb0EEENS1_30ComputePtrOffsetOfStridedBatchILi1ELi1ELi1EvEELb1ELb1EEEvPKT0_S3D_T1_PT2_T3_T4_T5_iT6_T7_T8_T9_T10_T11_,comdat
	.globl	_ZN2ck16tensor_operation6device12_GLOBAL__N_137kernel_grouped_conv_fwd_dl_multiple_dINS_32GridwiseGemmDlMultipleD_km_kn_mnILi256EDF16_fNS_5TupleIJDF16_EEEDF16_NS0_12element_wise11PassThroughES8_NS7_7AddReluELNS_25InMemoryDataOperationEnumE0ENS_16TensorDescriptorINS5_IJNS_5EmbedINS5_IJiiiiiEEESD_Lb0EEENS_11PassThroughIiEENS_3PadIiiiLb0EEESI_SI_SG_SG_NSC_INS5_IJiiEEESJ_Lb0EEESK_SK_SG_NS_23Merge_v2_magic_divisionINS5_IJiiiiEEEEESN_NS_8RightPadIiiLb0EEESP_NS_7UnMergeISJ_Lb0EEESG_EEENS5_IJNS_8SequenceIJLi0EEEENST_IJLi1EEEENST_IJLi2EEEENST_IJLi3EEEENST_IJLi4EEEENST_IJLi5EEEENST_IJLi6EEEENST_IJLi7EEEENST_IJLi8EEEENST_IJLi9EEEENST_IJLi10EEEENST_IJLi11ELi13ELi15ELi17EEEENST_IJLi12ELi14ELi16ELi18EEEENST_IJLi19EEEENST_IJLi20EEEENST_IJLi22EEEENST_IJLi21EEEEEEENS5_IJNST_IJLi1ELi2ELi3ELi4ELi5EEEES10_S11_S12_S13_S14_NST_IJLi11EEEENST_IJLi12ELi13EEEENST_IJLi14ELi15EEEENST_IJLi16ELi17EEEENST_IJLi18EEEES17_S18_S1A_S19_NST_IJLi23ELi24EEEENST_IJLi25EEEEEEENST_IJLi23ELi25ELi24EEEElEENSB_INS5_IJSR_SP_SP_SR_SG_EEENS5_IJSU_SV_SW_SY_SX_EEENS5_IJNST_IJLi1ELi2EEEESX_SY_NST_IJLi5ELi6EEEES11_EEENST_IJLi5ELi7ELi6EEEElEENSB_INS5_IJSK_SP_SP_EEENS5_IJSU_SV_SW_EEENS5_IJS1P_SX_SY_EEENST_IJLi3ELi4EEEElEELi128ELi128ELi16ELi2ELi4ELi4ELi1ENST_IJLi8ELi2EEEES1Z_NST_IJLi8ELi1ELi1ELi2EEEENST_IJLi2ELi1ELi128ELi1EEEENST_IJLi1ELi2ELi0ELi3EEEES22_NST_IJLi4ELi1ELi1ELi2EEEES22_NST_IJLi1ELi1ELi1ELi2EEEES20_S21_S22_S22_S23_S22_S24_NST_IJLi0ELi1ELi2ELi3ELi4ELi5EEEELi5ELi4EEEDF16_NS5_IJPKDF16_EEEDF16_S8_S8_S9_NSB_INS5_IJSE_SG_SI_SI_SI_SG_SG_SK_SK_SK_SG_SN_SN_SP_SP_SR_SG_SG_NSQ_INS5_IJiNS_17integral_constantIiLi128EEEEEELb0EEENSF_INS2A_IiLi2EEEEEEEENS5_IJSU_SV_SW_SX_SY_SZ_S10_S11_S12_S13_S14_S15_S16_S17_S18_S19_S1A_NST_IJLi23EEEES1J_NST_IJLi24EEEEEEENS5_IJS1C_S10_S11_S12_S13_S14_S1D_S1E_S1F_S1G_S1H_S17_S18_S1A_S19_S1I_S1J_NST_IJLi26EEEENST_IJLi27ELi28EEEENST_IJLi29EEEEEEENST_IJLi26ELi27ELi28ELi29EEEElEENSB_INS5_IJSR_SP_SP_SR_SG_SG_S2D_S2F_EEENS5_IJSU_SV_SW_SY_SX_SZ_S11_S10_EEENS5_IJS1P_SX_SY_S1Q_S11_S12_NST_IJLi9ELi10EEEES1D_EEENST_IJLi8ELi9ELi10ELi11EEEElEENS5_IJNSB_INS5_IJSK_SP_SP_NSQ_INS5_IJiS2E_NS2A_IiLi64EEEEEELb0EEES2Y_EEENS5_IJSU_SV_SW_SX_SY_EEENS5_IJS1P_SX_SY_NST_IJLi5ELi6ELi7EEEENST_IJLi8ELi9ELi10EEEEEEENST_IJLi5ELi6ELi7ELi8ELi9ELi10EEEElEEEEES35_NS_31BlockToCTileMap_M00_N00_M01_N01ILi128ELi128ES1Y_Lb0EEENS1_30ComputePtrOffsetOfStridedBatchILi1ELi1ELi1EvEELb1ELb1EEEvPKT0_S3D_T1_PT2_T3_T4_T5_iT6_T7_T8_T9_T10_T11_ ; -- Begin function _ZN2ck16tensor_operation6device12_GLOBAL__N_137kernel_grouped_conv_fwd_dl_multiple_dINS_32GridwiseGemmDlMultipleD_km_kn_mnILi256EDF16_fNS_5TupleIJDF16_EEEDF16_NS0_12element_wise11PassThroughES8_NS7_7AddReluELNS_25InMemoryDataOperationEnumE0ENS_16TensorDescriptorINS5_IJNS_5EmbedINS5_IJiiiiiEEESD_Lb0EEENS_11PassThroughIiEENS_3PadIiiiLb0EEESI_SI_SG_SG_NSC_INS5_IJiiEEESJ_Lb0EEESK_SK_SG_NS_23Merge_v2_magic_divisionINS5_IJiiiiEEEEESN_NS_8RightPadIiiLb0EEESP_NS_7UnMergeISJ_Lb0EEESG_EEENS5_IJNS_8SequenceIJLi0EEEENST_IJLi1EEEENST_IJLi2EEEENST_IJLi3EEEENST_IJLi4EEEENST_IJLi5EEEENST_IJLi6EEEENST_IJLi7EEEENST_IJLi8EEEENST_IJLi9EEEENST_IJLi10EEEENST_IJLi11ELi13ELi15ELi17EEEENST_IJLi12ELi14ELi16ELi18EEEENST_IJLi19EEEENST_IJLi20EEEENST_IJLi22EEEENST_IJLi21EEEEEEENS5_IJNST_IJLi1ELi2ELi3ELi4ELi5EEEES10_S11_S12_S13_S14_NST_IJLi11EEEENST_IJLi12ELi13EEEENST_IJLi14ELi15EEEENST_IJLi16ELi17EEEENST_IJLi18EEEES17_S18_S1A_S19_NST_IJLi23ELi24EEEENST_IJLi25EEEEEEENST_IJLi23ELi25ELi24EEEElEENSB_INS5_IJSR_SP_SP_SR_SG_EEENS5_IJSU_SV_SW_SY_SX_EEENS5_IJNST_IJLi1ELi2EEEESX_SY_NST_IJLi5ELi6EEEES11_EEENST_IJLi5ELi7ELi6EEEElEENSB_INS5_IJSK_SP_SP_EEENS5_IJSU_SV_SW_EEENS5_IJS1P_SX_SY_EEENST_IJLi3ELi4EEEElEELi128ELi128ELi16ELi2ELi4ELi4ELi1ENST_IJLi8ELi2EEEES1Z_NST_IJLi8ELi1ELi1ELi2EEEENST_IJLi2ELi1ELi128ELi1EEEENST_IJLi1ELi2ELi0ELi3EEEES22_NST_IJLi4ELi1ELi1ELi2EEEES22_NST_IJLi1ELi1ELi1ELi2EEEES20_S21_S22_S22_S23_S22_S24_NST_IJLi0ELi1ELi2ELi3ELi4ELi5EEEELi5ELi4EEEDF16_NS5_IJPKDF16_EEEDF16_S8_S8_S9_NSB_INS5_IJSE_SG_SI_SI_SI_SG_SG_SK_SK_SK_SG_SN_SN_SP_SP_SR_SG_SG_NSQ_INS5_IJiNS_17integral_constantIiLi128EEEEEELb0EEENSF_INS2A_IiLi2EEEEEEEENS5_IJSU_SV_SW_SX_SY_SZ_S10_S11_S12_S13_S14_S15_S16_S17_S18_S19_S1A_NST_IJLi23EEEES1J_NST_IJLi24EEEEEEENS5_IJS1C_S10_S11_S12_S13_S14_S1D_S1E_S1F_S1G_S1H_S17_S18_S1A_S19_S1I_S1J_NST_IJLi26EEEENST_IJLi27ELi28EEEENST_IJLi29EEEEEEENST_IJLi26ELi27ELi28ELi29EEEElEENSB_INS5_IJSR_SP_SP_SR_SG_SG_S2D_S2F_EEENS5_IJSU_SV_SW_SY_SX_SZ_S11_S10_EEENS5_IJS1P_SX_SY_S1Q_S11_S12_NST_IJLi9ELi10EEEES1D_EEENST_IJLi8ELi9ELi10ELi11EEEElEENS5_IJNSB_INS5_IJSK_SP_SP_NSQ_INS5_IJiS2E_NS2A_IiLi64EEEEEELb0EEES2Y_EEENS5_IJSU_SV_SW_SX_SY_EEENS5_IJS1P_SX_SY_NST_IJLi5ELi6ELi7EEEENST_IJLi8ELi9ELi10EEEEEEENST_IJLi5ELi6ELi7ELi8ELi9ELi10EEEElEEEEES35_NS_31BlockToCTileMap_M00_N00_M01_N01ILi128ELi128ES1Y_Lb0EEENS1_30ComputePtrOffsetOfStridedBatchILi1ELi1ELi1EvEELb1ELb1EEEvPKT0_S3D_T1_PT2_T3_T4_T5_iT6_T7_T8_T9_T10_T11_
	.p2align	8
	.type	_ZN2ck16tensor_operation6device12_GLOBAL__N_137kernel_grouped_conv_fwd_dl_multiple_dINS_32GridwiseGemmDlMultipleD_km_kn_mnILi256EDF16_fNS_5TupleIJDF16_EEEDF16_NS0_12element_wise11PassThroughES8_NS7_7AddReluELNS_25InMemoryDataOperationEnumE0ENS_16TensorDescriptorINS5_IJNS_5EmbedINS5_IJiiiiiEEESD_Lb0EEENS_11PassThroughIiEENS_3PadIiiiLb0EEESI_SI_SG_SG_NSC_INS5_IJiiEEESJ_Lb0EEESK_SK_SG_NS_23Merge_v2_magic_divisionINS5_IJiiiiEEEEESN_NS_8RightPadIiiLb0EEESP_NS_7UnMergeISJ_Lb0EEESG_EEENS5_IJNS_8SequenceIJLi0EEEENST_IJLi1EEEENST_IJLi2EEEENST_IJLi3EEEENST_IJLi4EEEENST_IJLi5EEEENST_IJLi6EEEENST_IJLi7EEEENST_IJLi8EEEENST_IJLi9EEEENST_IJLi10EEEENST_IJLi11ELi13ELi15ELi17EEEENST_IJLi12ELi14ELi16ELi18EEEENST_IJLi19EEEENST_IJLi20EEEENST_IJLi22EEEENST_IJLi21EEEEEEENS5_IJNST_IJLi1ELi2ELi3ELi4ELi5EEEES10_S11_S12_S13_S14_NST_IJLi11EEEENST_IJLi12ELi13EEEENST_IJLi14ELi15EEEENST_IJLi16ELi17EEEENST_IJLi18EEEES17_S18_S1A_S19_NST_IJLi23ELi24EEEENST_IJLi25EEEEEEENST_IJLi23ELi25ELi24EEEElEENSB_INS5_IJSR_SP_SP_SR_SG_EEENS5_IJSU_SV_SW_SY_SX_EEENS5_IJNST_IJLi1ELi2EEEESX_SY_NST_IJLi5ELi6EEEES11_EEENST_IJLi5ELi7ELi6EEEElEENSB_INS5_IJSK_SP_SP_EEENS5_IJSU_SV_SW_EEENS5_IJS1P_SX_SY_EEENST_IJLi3ELi4EEEElEELi128ELi128ELi16ELi2ELi4ELi4ELi1ENST_IJLi8ELi2EEEES1Z_NST_IJLi8ELi1ELi1ELi2EEEENST_IJLi2ELi1ELi128ELi1EEEENST_IJLi1ELi2ELi0ELi3EEEES22_NST_IJLi4ELi1ELi1ELi2EEEES22_NST_IJLi1ELi1ELi1ELi2EEEES20_S21_S22_S22_S23_S22_S24_NST_IJLi0ELi1ELi2ELi3ELi4ELi5EEEELi5ELi4EEEDF16_NS5_IJPKDF16_EEEDF16_S8_S8_S9_NSB_INS5_IJSE_SG_SI_SI_SI_SG_SG_SK_SK_SK_SG_SN_SN_SP_SP_SR_SG_SG_NSQ_INS5_IJiNS_17integral_constantIiLi128EEEEEELb0EEENSF_INS2A_IiLi2EEEEEEEENS5_IJSU_SV_SW_SX_SY_SZ_S10_S11_S12_S13_S14_S15_S16_S17_S18_S19_S1A_NST_IJLi23EEEES1J_NST_IJLi24EEEEEEENS5_IJS1C_S10_S11_S12_S13_S14_S1D_S1E_S1F_S1G_S1H_S17_S18_S1A_S19_S1I_S1J_NST_IJLi26EEEENST_IJLi27ELi28EEEENST_IJLi29EEEEEEENST_IJLi26ELi27ELi28ELi29EEEElEENSB_INS5_IJSR_SP_SP_SR_SG_SG_S2D_S2F_EEENS5_IJSU_SV_SW_SY_SX_SZ_S11_S10_EEENS5_IJS1P_SX_SY_S1Q_S11_S12_NST_IJLi9ELi10EEEES1D_EEENST_IJLi8ELi9ELi10ELi11EEEElEENS5_IJNSB_INS5_IJSK_SP_SP_NSQ_INS5_IJiS2E_NS2A_IiLi64EEEEEELb0EEES2Y_EEENS5_IJSU_SV_SW_SX_SY_EEENS5_IJS1P_SX_SY_NST_IJLi5ELi6ELi7EEEENST_IJLi8ELi9ELi10EEEEEEENST_IJLi5ELi6ELi7ELi8ELi9ELi10EEEElEEEEES35_NS_31BlockToCTileMap_M00_N00_M01_N01ILi128ELi128ES1Y_Lb0EEENS1_30ComputePtrOffsetOfStridedBatchILi1ELi1ELi1EvEELb1ELb1EEEvPKT0_S3D_T1_PT2_T3_T4_T5_iT6_T7_T8_T9_T10_T11_,@function
_ZN2ck16tensor_operation6device12_GLOBAL__N_137kernel_grouped_conv_fwd_dl_multiple_dINS_32GridwiseGemmDlMultipleD_km_kn_mnILi256EDF16_fNS_5TupleIJDF16_EEEDF16_NS0_12element_wise11PassThroughES8_NS7_7AddReluELNS_25InMemoryDataOperationEnumE0ENS_16TensorDescriptorINS5_IJNS_5EmbedINS5_IJiiiiiEEESD_Lb0EEENS_11PassThroughIiEENS_3PadIiiiLb0EEESI_SI_SG_SG_NSC_INS5_IJiiEEESJ_Lb0EEESK_SK_SG_NS_23Merge_v2_magic_divisionINS5_IJiiiiEEEEESN_NS_8RightPadIiiLb0EEESP_NS_7UnMergeISJ_Lb0EEESG_EEENS5_IJNS_8SequenceIJLi0EEEENST_IJLi1EEEENST_IJLi2EEEENST_IJLi3EEEENST_IJLi4EEEENST_IJLi5EEEENST_IJLi6EEEENST_IJLi7EEEENST_IJLi8EEEENST_IJLi9EEEENST_IJLi10EEEENST_IJLi11ELi13ELi15ELi17EEEENST_IJLi12ELi14ELi16ELi18EEEENST_IJLi19EEEENST_IJLi20EEEENST_IJLi22EEEENST_IJLi21EEEEEEENS5_IJNST_IJLi1ELi2ELi3ELi4ELi5EEEES10_S11_S12_S13_S14_NST_IJLi11EEEENST_IJLi12ELi13EEEENST_IJLi14ELi15EEEENST_IJLi16ELi17EEEENST_IJLi18EEEES17_S18_S1A_S19_NST_IJLi23ELi24EEEENST_IJLi25EEEEEEENST_IJLi23ELi25ELi24EEEElEENSB_INS5_IJSR_SP_SP_SR_SG_EEENS5_IJSU_SV_SW_SY_SX_EEENS5_IJNST_IJLi1ELi2EEEESX_SY_NST_IJLi5ELi6EEEES11_EEENST_IJLi5ELi7ELi6EEEElEENSB_INS5_IJSK_SP_SP_EEENS5_IJSU_SV_SW_EEENS5_IJS1P_SX_SY_EEENST_IJLi3ELi4EEEElEELi128ELi128ELi16ELi2ELi4ELi4ELi1ENST_IJLi8ELi2EEEES1Z_NST_IJLi8ELi1ELi1ELi2EEEENST_IJLi2ELi1ELi128ELi1EEEENST_IJLi1ELi2ELi0ELi3EEEES22_NST_IJLi4ELi1ELi1ELi2EEEES22_NST_IJLi1ELi1ELi1ELi2EEEES20_S21_S22_S22_S23_S22_S24_NST_IJLi0ELi1ELi2ELi3ELi4ELi5EEEELi5ELi4EEEDF16_NS5_IJPKDF16_EEEDF16_S8_S8_S9_NSB_INS5_IJSE_SG_SI_SI_SI_SG_SG_SK_SK_SK_SG_SN_SN_SP_SP_SR_SG_SG_NSQ_INS5_IJiNS_17integral_constantIiLi128EEEEEELb0EEENSF_INS2A_IiLi2EEEEEEEENS5_IJSU_SV_SW_SX_SY_SZ_S10_S11_S12_S13_S14_S15_S16_S17_S18_S19_S1A_NST_IJLi23EEEES1J_NST_IJLi24EEEEEEENS5_IJS1C_S10_S11_S12_S13_S14_S1D_S1E_S1F_S1G_S1H_S17_S18_S1A_S19_S1I_S1J_NST_IJLi26EEEENST_IJLi27ELi28EEEENST_IJLi29EEEEEEENST_IJLi26ELi27ELi28ELi29EEEElEENSB_INS5_IJSR_SP_SP_SR_SG_SG_S2D_S2F_EEENS5_IJSU_SV_SW_SY_SX_SZ_S11_S10_EEENS5_IJS1P_SX_SY_S1Q_S11_S12_NST_IJLi9ELi10EEEES1D_EEENST_IJLi8ELi9ELi10ELi11EEEElEENS5_IJNSB_INS5_IJSK_SP_SP_NSQ_INS5_IJiS2E_NS2A_IiLi64EEEEEELb0EEES2Y_EEENS5_IJSU_SV_SW_SX_SY_EEENS5_IJS1P_SX_SY_NST_IJLi5ELi6ELi7EEEENST_IJLi8ELi9ELi10EEEEEEENST_IJLi5ELi6ELi7ELi8ELi9ELi10EEEElEEEEES35_NS_31BlockToCTileMap_M00_N00_M01_N01ILi128ELi128ES1Y_Lb0EEENS1_30ComputePtrOffsetOfStridedBatchILi1ELi1ELi1EvEELb1ELb1EEEvPKT0_S3D_T1_PT2_T3_T4_T5_iT6_T7_T8_T9_T10_T11_: ; @_ZN2ck16tensor_operation6device12_GLOBAL__N_137kernel_grouped_conv_fwd_dl_multiple_dINS_32GridwiseGemmDlMultipleD_km_kn_mnILi256EDF16_fNS_5TupleIJDF16_EEEDF16_NS0_12element_wise11PassThroughES8_NS7_7AddReluELNS_25InMemoryDataOperationEnumE0ENS_16TensorDescriptorINS5_IJNS_5EmbedINS5_IJiiiiiEEESD_Lb0EEENS_11PassThroughIiEENS_3PadIiiiLb0EEESI_SI_SG_SG_NSC_INS5_IJiiEEESJ_Lb0EEESK_SK_SG_NS_23Merge_v2_magic_divisionINS5_IJiiiiEEEEESN_NS_8RightPadIiiLb0EEESP_NS_7UnMergeISJ_Lb0EEESG_EEENS5_IJNS_8SequenceIJLi0EEEENST_IJLi1EEEENST_IJLi2EEEENST_IJLi3EEEENST_IJLi4EEEENST_IJLi5EEEENST_IJLi6EEEENST_IJLi7EEEENST_IJLi8EEEENST_IJLi9EEEENST_IJLi10EEEENST_IJLi11ELi13ELi15ELi17EEEENST_IJLi12ELi14ELi16ELi18EEEENST_IJLi19EEEENST_IJLi20EEEENST_IJLi22EEEENST_IJLi21EEEEEEENS5_IJNST_IJLi1ELi2ELi3ELi4ELi5EEEES10_S11_S12_S13_S14_NST_IJLi11EEEENST_IJLi12ELi13EEEENST_IJLi14ELi15EEEENST_IJLi16ELi17EEEENST_IJLi18EEEES17_S18_S1A_S19_NST_IJLi23ELi24EEEENST_IJLi25EEEEEEENST_IJLi23ELi25ELi24EEEElEENSB_INS5_IJSR_SP_SP_SR_SG_EEENS5_IJSU_SV_SW_SY_SX_EEENS5_IJNST_IJLi1ELi2EEEESX_SY_NST_IJLi5ELi6EEEES11_EEENST_IJLi5ELi7ELi6EEEElEENSB_INS5_IJSK_SP_SP_EEENS5_IJSU_SV_SW_EEENS5_IJS1P_SX_SY_EEENST_IJLi3ELi4EEEElEELi128ELi128ELi16ELi2ELi4ELi4ELi1ENST_IJLi8ELi2EEEES1Z_NST_IJLi8ELi1ELi1ELi2EEEENST_IJLi2ELi1ELi128ELi1EEEENST_IJLi1ELi2ELi0ELi3EEEES22_NST_IJLi4ELi1ELi1ELi2EEEES22_NST_IJLi1ELi1ELi1ELi2EEEES20_S21_S22_S22_S23_S22_S24_NST_IJLi0ELi1ELi2ELi3ELi4ELi5EEEELi5ELi4EEEDF16_NS5_IJPKDF16_EEEDF16_S8_S8_S9_NSB_INS5_IJSE_SG_SI_SI_SI_SG_SG_SK_SK_SK_SG_SN_SN_SP_SP_SR_SG_SG_NSQ_INS5_IJiNS_17integral_constantIiLi128EEEEEELb0EEENSF_INS2A_IiLi2EEEEEEEENS5_IJSU_SV_SW_SX_SY_SZ_S10_S11_S12_S13_S14_S15_S16_S17_S18_S19_S1A_NST_IJLi23EEEES1J_NST_IJLi24EEEEEEENS5_IJS1C_S10_S11_S12_S13_S14_S1D_S1E_S1F_S1G_S1H_S17_S18_S1A_S19_S1I_S1J_NST_IJLi26EEEENST_IJLi27ELi28EEEENST_IJLi29EEEEEEENST_IJLi26ELi27ELi28ELi29EEEElEENSB_INS5_IJSR_SP_SP_SR_SG_SG_S2D_S2F_EEENS5_IJSU_SV_SW_SY_SX_SZ_S11_S10_EEENS5_IJS1P_SX_SY_S1Q_S11_S12_NST_IJLi9ELi10EEEES1D_EEENST_IJLi8ELi9ELi10ELi11EEEElEENS5_IJNSB_INS5_IJSK_SP_SP_NSQ_INS5_IJiS2E_NS2A_IiLi64EEEEEELb0EEES2Y_EEENS5_IJSU_SV_SW_SX_SY_EEENS5_IJS1P_SX_SY_NST_IJLi5ELi6ELi7EEEENST_IJLi8ELi9ELi10EEEEEEENST_IJLi5ELi6ELi7ELi8ELi9ELi10EEEElEEEEES35_NS_31BlockToCTileMap_M00_N00_M01_N01ILi128ELi128ES1Y_Lb0EEENS1_30ComputePtrOffsetOfStridedBatchILi1ELi1ELi1EvEELb1ELb1EEEvPKT0_S3D_T1_PT2_T3_T4_T5_iT6_T7_T8_T9_T10_T11_
; %bb.0:
	s_clause 0x6
	s_load_b32 s2, s[0:1], 0x24
	s_load_b128 s[44:47], s[0:1], 0x3c
	s_load_b32 s69, s[0:1], 0x4c
	s_load_b32 s4, s[0:1], 0x300
	s_load_b256 s[36:43], s[0:1], 0x2d8
	s_load_b128 s[20:23], s[0:1], 0x2c0
	s_load_b32 s71, s[0:1], 0x13c
	v_lshrrev_b32_e32 v7, 1, v0
	v_mov_b32_e32 v134, 0
	v_dual_mov_b32 v136, 0 :: v_dual_mov_b32 v139, 0
	v_dual_mov_b32 v102, 0 :: v_dual_mov_b32 v99, 0
	;; [unrolled: 1-line block ×6, first 2 shown]
	s_waitcnt lgkmcnt(0)
	s_abs_i32 s3, s2
	v_dual_mov_b32 v142, 0 :: v_dual_mov_b32 v145, 0
	v_cvt_f32_u32_e32 v1, s3
	s_sub_i32 s6, 0, s3
	s_abs_i32 s7, s4
	s_xor_b32 s2, s4, s2
	v_dual_mov_b32 v114, 0 :: v_dual_mov_b32 v111, 0
	v_rcp_iflag_f32_e32 v1, v1
	s_ashr_i32 s2, s2, 31
	v_dual_mov_b32 v144, 0 :: v_dual_mov_b32 v147, 0
	v_dual_mov_b32 v112, 0 :: v_dual_mov_b32 v117, 0
	;; [unrolled: 1-line block ×4, first 2 shown]
	s_waitcnt_depctr 0xfff
	v_dual_mul_f32 v1, 0x4f7ffffe, v1 :: v_dual_mov_b32 v148, 0
	v_dual_mov_b32 v151, 0 :: v_dual_mov_b32 v118, 0
	v_mov_b32_e32 v123, 0
	s_delay_alu instid0(VALU_DEP_3) | instskip(SKIP_2) | instid1(VALU_DEP_3)
	v_cvt_u32_f32_e32 v1, v1
	v_dual_mov_b32 v150, 0 :: v_dual_mov_b32 v153, 0
	v_dual_mov_b32 v122, 0 :: v_dual_mov_b32 v121, 0
	v_readfirstlane_b32 s5, v1
	v_dual_mov_b32 v152, 0 :: v_dual_mov_b32 v155, 0
	v_dual_mov_b32 v120, 0 :: v_dual_mov_b32 v125, 0
	s_delay_alu instid0(VALU_DEP_3)
	s_mul_i32 s6, s6, s5
	v_dual_mov_b32 v154, 0 :: v_dual_mov_b32 v157, 0
	s_mul_hi_u32 s6, s5, s6
	v_dual_mov_b32 v124, 0 :: v_dual_mov_b32 v129, 0
	s_add_i32 s5, s5, s6
	v_dual_mov_b32 v156, 0 :: v_dual_mov_b32 v159, 0
	s_mul_hi_u32 s5, s7, s5
	v_dual_mov_b32 v130, 0 :: v_dual_mov_b32 v133, 0
	s_mul_i32 s4, s5, s3
	s_add_i32 s6, s5, 1
	s_sub_i32 s4, s7, s4
	v_dual_mov_b32 v158, 0 :: v_dual_mov_b32 v113, 0
	s_sub_i32 s7, s4, s3
	s_cmp_ge_u32 s4, s3
	v_dual_mov_b32 v110, 0 :: v_dual_mov_b32 v135, 0
	s_cselect_b32 s5, s6, s5
	s_cselect_b32 s4, s7, s4
	s_add_i32 s6, s5, 1
	s_cmp_ge_u32 s4, s3
	v_dual_mov_b32 v108, 0 :: v_dual_mov_b32 v109, 0
	s_cselect_b32 s3, s6, s5
	s_abs_i32 s10, s15
	s_xor_b32 s3, s3, s2
	s_clause 0x2
	s_load_b128 s[4:7], s[0:1], 0x0
	s_load_b64 s[60:61], s[0:1], 0x18
	s_load_b256 s[24:31], s[0:1], 0xec
	s_sub_i32 s2, s3, s2
	s_clause 0x1
	s_load_b128 s[52:55], s[0:1], 0x298
	s_load_b128 s[16:19], s[0:1], 0x2ac
	s_abs_i32 s3, s2
	s_xor_b32 s2, s15, s2
	v_cvt_f32_u32_e32 v1, s3
	s_sub_i32 s9, 0, s3
	s_ashr_i32 s2, s2, 31
	s_clause 0x1
	s_load_b32 s76, s[0:1], 0x120
	s_load_b32 s68, s[0:1], 0x12c
	v_mov_b32_e32 v126, 0
	v_rcp_iflag_f32_e32 v1, v1
	v_dual_mov_b32 v107, 0 :: v_dual_mov_b32 v106, 0
	v_mov_b32_e32 v128, 0
	v_dual_mov_b32 v104, 0 :: v_dual_mov_b32 v127, 0
	v_mov_b32_e32 v105, 0
	v_mov_b32_e32 v131, 0
	;; [unrolled: 1-line block ×4, first 2 shown]
	s_delay_alu instid0(TRANS32_DEP_1) | instskip(SKIP_1) | instid1(VALU_DEP_2)
	v_dual_mul_f32 v1, 0x4f7ffffe, v1 :: v_dual_mov_b32 v132, 0
	v_dual_mov_b32 v103, 0 :: v_dual_mov_b32 v100, 0
	v_cvt_u32_f32_e32 v1, v1
	s_delay_alu instid0(VALU_DEP_1) | instskip(SKIP_1) | instid1(VALU_DEP_2)
	v_readfirstlane_b32 s8, v1
	v_lshlrev_b32_e32 v1, 3, v0
	s_mul_i32 s9, s9, s8
	s_delay_alu instid0(VALU_DEP_1) | instskip(SKIP_1) | instid1(SALU_CYCLE_1)
	v_and_b32_e32 v2, 8, v1
	s_mul_hi_u32 s9, s8, s9
	s_add_i32 s8, s8, s9
	s_delay_alu instid0(SALU_CYCLE_1) | instskip(NEXT) | instid1(VALU_DEP_1)
	s_mul_hi_u32 s8, s10, s8
	v_or_b32_e32 v1, 4, v2
	s_mul_i32 s9, s8, s3
	s_delay_alu instid0(SALU_CYCLE_1)
	s_sub_i32 s9, s10, s9
	s_add_i32 s10, s8, 1
	s_sub_i32 s11, s9, s3
	s_cmp_ge_u32 s9, s3
	s_cselect_b32 s8, s10, s8
	s_cselect_b32 s9, s11, s9
	s_add_i32 s10, s8, 1
	s_cmp_ge_u32 s9, s3
	s_cselect_b32 s3, s10, s8
	s_waitcnt lgkmcnt(0)
	s_mul_hi_u32 s10, s19, s15
	s_xor_b32 s3, s3, s2
	s_delay_alu instid0(SALU_CYCLE_1) | instskip(NEXT) | instid1(SALU_CYCLE_1)
	s_sub_i32 s72, s3, s2
	s_ashr_i32 s73, s72, 31
	s_mul_hi_u32 s3, s36, s72
	s_mul_i32 s19, s36, s73
	s_mul_i32 s9, s37, s72
	s_add_i32 s3, s3, s19
	s_mul_hi_u32 s11, s38, s72
	s_mul_hi_u32 s13, s42, s72
	s_mul_i32 s27, s38, s73
	s_mul_i32 s31, s42, s73
	;; [unrolled: 1-line block ×3, first 2 shown]
	s_add_i32 s3, s3, s9
	s_mul_i32 s12, s39, s72
	s_mul_i32 s14, s43, s72
	s_add_i32 s11, s11, s27
	s_add_i32 s13, s13, s31
	s_lshl_b64 s[2:3], s[2:3], 1
	s_mul_i32 s8, s38, s72
	s_add_i32 s9, s11, s12
	s_add_i32 s43, s13, s14
	s_add_u32 s36, s4, s2
	s_addc_u32 s37, s5, s3
	s_lshl_b64 s[2:3], s[8:9], 1
	s_load_b32 s27, s[0:1], 0x28c
	s_add_u32 s12, s6, s2
	s_addc_u32 s13, s7, s3
	s_add_i32 s2, s15, s10
	s_load_b128 s[48:51], s[0:1], 0x10c
	s_lshr_b32 s3, s2, s23
	v_mul_lo_u32 v14, s71, v2
	s_mul_hi_u32 s2, s3, s18
	s_clause 0x1
	s_load_b32 s14, s[0:1], 0x27c
	s_load_b256 s[4:11], s[0:1], 0xb8
	s_add_i32 s2, s3, s2
	v_mul_lo_u32 v3, s71, v1
	s_waitcnt lgkmcnt(0)
	s_lshr_b32 s11, s2, s22
	s_mov_b32 s39, 0x31004000
	s_mul_hi_u32 s2, s11, s17
	v_mul_hi_u32 v1, v14, s30
	s_add_i32 s2, s11, s2
	s_mul_i32 s7, s11, s54
	s_lshr_b32 s31, s2, s21
	v_mul_hi_u32 v4, v3, s30
	s_mul_hi_u32 s2, s31, s16
	s_sub_i32 s51, s3, s7
	s_add_i32 s2, s31, s2
	v_add_nc_u32_e32 v1, v14, v1
	s_lshr_b32 s2, s2, s20
	s_clause 0x1
	s_load_b256 s[16:23], s[0:1], 0x54
	s_load_b128 s[56:59], s[0:1], 0xd8
	s_mul_i32 s2, s2, s52
	s_mul_i32 s3, s3, s55
	s_sub_i32 s2, s31, s2
	v_lshrrev_b32_e32 v5, s50, v1
	v_add_nc_u32_e32 v1, v3, v4
	s_mul_i32 s2, s2, s14
	s_mul_i32 s31, s31, s53
	s_add_i32 s51, s51, s2
	v_mul_hi_u32 v4, v5, s29
	v_lshrrev_b32_e32 v6, s50, v1
	v_lshl_or_b32 v42, s51, 7, v7
	v_mul_lo_u32 v9, v5, s26
	s_mul_i32 s42, s42, s72
	s_lshl_b32 s74, s71, 5
	v_mul_hi_u32 v1, v6, s29
	v_mul_hi_u32 v8, v42, s10
	v_add_nc_u32_e32 v4, v5, v4
	v_mul_lo_u32 v10, v6, s26
	s_clause 0x7
	s_load_b32 s10, s[0:1], 0x160
	s_load_b32 s14, s[0:1], 0x170
	;; [unrolled: 1-line block ×5, first 2 shown]
	s_load_b64 s[64:65], s[0:1], 0x88
	s_load_b64 s[62:63], s[0:1], 0x98
	;; [unrolled: 1-line block ×3, first 2 shown]
	v_sub_nc_u32_e32 v9, v14, v9
	v_lshrrev_b32_e32 v11, s49, v4
	v_add_nc_u32_e32 v1, v6, v1
	v_add_nc_u32_e32 v4, v42, v8
	s_waitcnt lgkmcnt(0)
	s_sub_i32 s19, s19, s21
	v_cmp_gt_i32_e32 vcc_lo, s76, v42
	v_mul_hi_u32 v12, v11, s28
	v_lshrrev_b32_e32 v8, s49, v1
	v_lshrrev_b32_e32 v13, s58, v4
	v_sub_nc_u32_e32 v1, v3, v10
	v_mul_lo_u32 v4, v11, s25
	s_sub_i32 s16, s16, s18
	v_mul_hi_u32 v10, v8, s28
	v_mul_hi_u32 v16, v13, s9
	v_add_nc_u32_e32 v12, v11, v12
	v_mul_lo_u32 v15, v8, s25
	v_sub_nc_u32_e32 v17, v1, v9
	s_clause 0x1
	s_load_b32 s9, s[0:1], 0x1c0
	s_load_b64 s[58:59], s[0:1], 0x1d0
	v_sub_nc_u32_e32 v4, v5, v4
	v_lshrrev_b32_e32 v12, s48, v12
	v_add_nc_u32_e32 v10, v8, v10
	v_add_nc_u32_e32 v16, v13, v16
	v_mul_lo_u32 v9, v9, s69
	v_sub_nc_u32_e32 v89, v6, v15
	v_mul_lo_u32 v5, v12, s24
	v_lshrrev_b32_e32 v88, s48, v10
	v_lshrrev_b32_e32 v10, s57, v16
	v_mul_lo_u32 v15, v17, s69
	v_sub_nc_u32_e32 v6, v89, v4
	v_mul_lo_u32 v4, v4, s66
	v_mul_lo_u32 v16, v88, s24
	v_mul_hi_u32 v18, v10, s8
	v_sub_nc_u32_e32 v11, v11, v5
	v_sub_nc_u32_e32 v17, v88, v12
	v_mul_lo_u32 v5, v12, s64
	v_mul_lo_u32 v12, v13, s6
	;; [unrolled: 1-line block ×4, first 2 shown]
	v_sub_nc_u32_e32 v90, v8, v16
	v_add_nc_u32_e32 v8, v10, v18
	v_mul_lo_u32 v16, v10, s5
	v_mul_lo_u32 v45, v17, s64
	s_sub_i32 s5, s11, s31
	v_sub_nc_u32_e32 v12, v42, v12
	v_lshrrev_b32_e32 v8, s56, v8
	s_sub_i32 s56, s15, s3
	s_mul_i32 s5, s5, s27
	v_mul_lo_u32 v43, s7, v2
	v_sub_nc_u32_e32 v13, v13, v16
	v_mul_lo_u32 v17, v8, s4
	v_mad_u64_u32 v[22:23], null, v12, s67, v[4:5]
	s_add_i32 s56, s56, s5
	s_delay_alu instid0(VALU_DEP_3)
	v_mad_u64_u32 v[39:40], null, v13, s63, v[6:7]
	v_mul_lo_u32 v6, v44, s47
	v_lshl_or_b32 v46, s56, 7, v7
	v_sub_nc_u32_e32 v4, v10, v17
	v_sub_nc_u32_e32 v10, v90, v11
	v_mul_lo_u32 v11, v45, s45
	v_mul_lo_u32 v8, v8, s44
	;; [unrolled: 1-line block ×3, first 2 shown]
	s_lshl_b32 s44, s7, 2
	v_mad_u64_u32 v[40:41], null, v4, s65, v[5:6]
	v_subrev_nc_u32_e32 v4, s23, v22
	v_subrev_nc_u32_e32 v5, s20, v39
	v_mul_lo_u32 v41, v10, s62
	v_add3_u32 v6, v6, v15, v11
	v_add_nc_u32_e32 v12, v80, v43
	v_mul_lo_u32 v4, v4, s47
	v_mul_lo_u32 v5, v5, s46
	v_subrev_nc_u32_e32 v10, s17, v40
	s_mov_b32 s15, s39
	v_lshlrev_b32_e32 v13, 1, v12
	v_mul_lo_u32 v11, v41, s46
	s_waitcnt lgkmcnt(0)
	s_lshl_b32 s14, s9, 1
	v_mul_lo_u32 v10, v10, s45
	s_lshl_b32 s38, s10, 1
	v_add3_u32 v4, v4, v9, v5
	v_add_lshl_u32 v5, v12, s44, 1
	buffer_load_b128 v[23:26], v13, s[12:15], 0 offen
	v_lshlrev_b32_e32 v7, 2, v7
	v_or_b32_e32 v12, 32, v2
	v_add_nc_u32_e32 v168, v22, v44
	v_add3_u32 v4, v4, v8, v10
	buffer_load_b128 v[27:30], v5, s[12:15], 0 offen
	v_or_b32_e32 v10, 16, v2
	v_lshl_or_b32 v164, v2, 9, v7
	v_mul_lo_u32 v7, s7, v12
	v_add3_u32 v91, v6, v11, v4
	v_lshlrev_b32_e32 v4, 1, v4
	v_mul_lo_u32 v9, s7, v10
	v_mul_lo_u32 v10, s71, v10
	;; [unrolled: 1-line block ×3, first 2 shown]
	v_lshlrev_b32_e32 v5, 1, v91
	s_clause 0x1
	buffer_load_b128 v[31:34], v4, s[36:39], 0 offen
	buffer_load_b128 v[35:38], v5, s[36:39], 0 offen
	v_lshrrev_b32_e32 v4, 5, v0
	v_lshlrev_b32_e32 v5, 1, v0
	s_clause 0x4
	s_load_b32 s11, s[0:1], 0x22c
	s_load_b32 s27, s[0:1], 0x238
	s_load_b64 s[52:53], s[0:1], 0x260
	s_load_b32 s6, s[0:1], 0x74
	s_load_b32 s8, s[0:1], 0x148
	v_lshlrev_b32_e32 v0, 2, v0
	v_or_b32_e32 v13, 36, v2
	v_dual_mov_b32 v19, v12 :: v_dual_lshlrev_b32 v6, 6, v4
	v_dual_mov_b32 v21, v10 :: v_dual_and_b32 v8, 0x1f8, v5
	v_or_b32_e32 v11, 20, v2
	s_mul_i32 s57, s7, 12
	s_lshl_b32 s65, s7, 5
	s_delay_alu instid0(VALU_DEP_2)
	v_sub_nc_u32_e32 v6, v8, v6
	s_lshl_b32 s67, s7, 6
	v_cmp_le_i32_e64 s9, s23, v168
	v_cmp_gt_i32_e64 s3, s68, v14
	v_cmp_gt_i32_e64 s4, s68, v3
	v_and_or_b32 v162, v0, 4, v6
	v_mul_lo_u32 v6, s7, v13
	v_mul_lo_u32 v13, s71, v13
	v_and_b32_e32 v5, 0x1fc, v5
	s_waitcnt lgkmcnt(0)
	s_sub_i32 s22, s22, s6
	s_sub_i32 s21, s8, 32
	v_cmp_gt_i32_e64 s8, s22, v22
	v_cmp_gt_i32_e64 s10, s22, v168
	v_add_nc_u32_e32 v167, v39, v41
	v_dual_mov_b32 v18, v13 :: v_dual_add_nc_u32 v169, v40, v45
	v_sub_nc_u32_e32 v5, v5, v8
	v_mul_lo_u32 v8, s7, v11
	v_cmp_le_i32_e64 s7, s23, v22
	s_clause 0x3
	s_load_b32 s31, s[0:1], 0x1dc
	s_load_b32 s33, s[0:1], 0x1e8
	s_load_b64 s[54:55], s[0:1], 0x210
	s_load_b64 s[34:35], s[0:1], 0x220
	s_and_b32 s9, s9, s10
	v_lshl_add_u32 v163, v4, 3, v5
	s_and_b32 s77, s4, s9
	s_and_b32 s76, s7, s8
	v_cmp_le_i32_e64 s7, s20, v39
	v_cmp_gt_i32_e64 s8, s19, v39
	s_and_b32 s76, s3, s76
	v_cmp_le_i32_e64 s3, s20, v167
	v_cmp_gt_i32_e64 s4, s19, v167
	v_add_nc_u32_e32 v4, s44, v43
	s_and_b32 s78, s7, s8
	v_cmp_le_i32_e64 s7, s17, v40
	v_cmp_gt_i32_e64 s8, s16, v40
	v_cmp_le_i32_e64 s9, s17, v169
	v_cmp_gt_i32_e64 s10, s16, v169
	v_cmp_gt_i32_e64 s5, s70, v43
	;; [unrolled: 1-line block ×3, first 2 shown]
	s_and_b32 s3, s3, s4
	v_mul_lo_u32 v11, s71, v11
	v_cmp_gt_i32_e64 s6, s70, v4
	s_and_b32 s4, s76, s78
	s_and_b32 s3, s77, s3
	;; [unrolled: 1-line block ×7, first 2 shown]
	v_or_b32_e32 v5, 0x4000, v164
	v_or_b32_e32 v165, 0x2000, v164
	;; [unrolled: 1-line block ×3, first 2 shown]
	v_lshlrev_b32_e32 v160, 2, v163
	v_lshlrev_b32_e32 v161, 2, v162
	v_lshlrev_b32_e32 v14, 1, v6
	v_lshlrev_b32_e32 v15, 1, v7
	v_lshlrev_b32_e32 v16, 1, v8
	v_dual_mov_b32 v20, v11 :: v_dual_lshlrev_b32 v17, 1, v9
	v_lshlrev_b32_e32 v22, 1, v80
	s_mov_b32 s53, 0
	s_mov_b32 s63, 0
	s_waitcnt lgkmcnt(0)
	s_mul_i32 s55, s71, 12
	s_lshl_b32 s18, s71, 2
	s_sub_i32 s75, 0, s26
	s_waitcnt vmcnt(3)
	v_cndmask_b32_e64 v24, 0, v24, s3
	v_cndmask_b32_e64 v23, 0, v23, s3
	;; [unrolled: 1-line block ×4, first 2 shown]
	s_and_b32 s3, s6, s2
	ds_store_2addr_stride64_b32 v164, v23, v24 offset0:64 offset1:66
	ds_store_2addr_stride64_b32 v164, v25, v0 offset0:68 offset1:70
	s_waitcnt vmcnt(2)
	v_cndmask_b32_e64 v26, 0, v30, s3
	v_cndmask_b32_e64 v29, 0, v29, s3
	;; [unrolled: 1-line block ×4, first 2 shown]
	s_and_b32 s3, vcc_lo, s4
	s_waitcnt vmcnt(1)
	v_cndmask_b32_e64 v0, 0, v34, s3
	v_cndmask_b32_e64 v23, 0, v33, s3
	;; [unrolled: 1-line block ×4, first 2 shown]
	s_and_b32 s3, vcc_lo, s7
	s_waitcnt vmcnt(0)
	v_cndmask_b32_e64 v31, 0, v36, s3
	v_cndmask_b32_e64 v32, 0, v35, s3
	;; [unrolled: 1-line block ×4, first 2 shown]
	ds_store_2addr_stride64_b32 v164, v27, v28 offset0:72 offset1:74
	ds_store_2addr_stride64_b32 v164, v25, v24 offset1:2
	ds_store_2addr_stride64_b32 v164, v23, v0 offset0:4 offset1:6
	ds_store_2addr_stride64_b32 v164, v32, v31 offset0:8 offset1:10
	;; [unrolled: 1-line block ×4, first 2 shown]
.LBB9_1:                                ; =>This Inner Loop Header: Depth=1
	v_mul_hi_u32 v0, s30, v21
	v_add_nc_u32_e32 v25, s53, v10
	v_mul_hi_u32 v24, s30, v20
	v_add_nc_u32_e32 v35, s53, v11
	v_mul_hi_u32 v23, s30, v19
	v_mul_hi_u32 v26, s30, v18
	v_cmp_gt_i32_e64 s3, s68, v25
	v_add_nc_u32_e32 v21, s74, v21
	v_add_nc_u32_e32 v0, v25, v0
	;; [unrolled: 1-line block ×5, first 2 shown]
	s_add_i32 s63, s63, 32
	v_lshrrev_b32_e32 v0, s50, v0
	s_delay_alu instid0(VALU_DEP_1) | instskip(NEXT) | instid1(VALU_DEP_1)
	v_mul_lo_u32 v27, s75, v0
	v_add_nc_u32_e32 v36, v25, v27
	v_sub_nc_u32_e32 v1, v27, v1
	v_mul_hi_u32 v27, v0, s29
	s_delay_alu instid0(VALU_DEP_2) | instskip(NEXT) | instid1(VALU_DEP_2)
	v_add_nc_u32_e32 v1, v25, v1
	v_add_nc_u32_e32 v27, v0, v27
	s_delay_alu instid0(VALU_DEP_2) | instskip(NEXT) | instid1(VALU_DEP_2)
	v_mul_lo_u32 v1, v1, s69
	v_lshrrev_b32_e32 v27, s49, v27
	s_delay_alu instid0(VALU_DEP_1) | instskip(NEXT) | instid1(VALU_DEP_1)
	v_mul_lo_u32 v28, v27, s25
	v_sub_nc_u32_e32 v37, v0, v28
	v_mul_hi_u32 v28, v27, s28
	s_delay_alu instid0(VALU_DEP_2) | instskip(NEXT) | instid1(VALU_DEP_2)
	v_sub_nc_u32_e32 v0, v37, v89
	v_add_nc_u32_e32 v28, v27, v28
	s_delay_alu instid0(VALU_DEP_2) | instskip(NEXT) | instid1(VALU_DEP_2)
	v_mul_lo_u32 v0, v0, s66
	v_lshrrev_b32_e32 v38, s48, v28
	s_delay_alu instid0(VALU_DEP_2) | instskip(NEXT) | instid1(VALU_DEP_2)
	v_add_nc_u32_e32 v40, v0, v168
	v_mul_lo_u32 v28, v38, s24
	v_mul_lo_u32 v0, v0, s47
	s_delay_alu instid0(VALU_DEP_3) | instskip(SKIP_1) | instid1(VALU_DEP_4)
	v_cmp_le_i32_e64 s4, s23, v40
	v_cmp_gt_i32_e64 s5, s22, v40
	v_sub_nc_u32_e32 v39, v27, v28
	v_sub_nc_u32_e32 v28, v38, v88
	v_add3_u32 v0, v1, v91, v0
	s_delay_alu instid0(VALU_DEP_4) | instskip(NEXT) | instid1(VALU_DEP_3)
	s_and_b32 s4, s4, s5
	v_sub_nc_u32_e32 v27, v39, v90
	s_delay_alu instid0(VALU_DEP_3) | instskip(SKIP_1) | instid1(VALU_DEP_2)
	v_mul_lo_u32 v28, v28, s64
	s_and_b32 s5, s3, s4
	v_mul_lo_u32 v27, v27, s62
	s_delay_alu instid0(VALU_DEP_2) | instskip(SKIP_1) | instid1(VALU_DEP_3)
	v_add_nc_u32_e32 v42, v28, v169
	v_mul_lo_u32 v28, v28, s45
	v_add_nc_u32_e32 v41, v27, v167
	v_mul_lo_u32 v27, v27, s46
	s_delay_alu instid0(VALU_DEP_2) | instskip(SKIP_1) | instid1(VALU_DEP_3)
	v_cmp_le_i32_e64 s3, s20, v41
	v_cmp_gt_i32_e64 s4, s19, v41
	v_add3_u32 v43, v0, v28, v27
	s_delay_alu instid0(VALU_DEP_2) | instskip(SKIP_2) | instid1(VALU_DEP_2)
	s_and_b32 s3, s3, s4
	v_cmp_gt_i32_e64 s4, s16, v42
	s_and_b32 s5, s5, s3
	v_lshlrev_b32_e32 v0, 1, v43
	v_cmp_le_i32_e64 s3, s17, v42
	buffer_load_b128 v[27:30], v0, s[36:39], 0 offen
	v_add_nc_u32_e32 v0, v35, v24
	s_and_b32 s3, s3, s4
	s_delay_alu instid0(SALU_CYCLE_1) | instskip(NEXT) | instid1(VALU_DEP_1)
	s_and_b32 s3, s3, s5
	v_lshrrev_b32_e32 v24, s50, v0
	s_and_b32 s3, vcc_lo, s3
	s_delay_alu instid0(VALU_DEP_1) | instskip(SKIP_1) | instid1(VALU_DEP_1)
	v_mad_u64_u32 v[0:1], null, s75, v24, v[35:36]
	v_mul_hi_u32 v1, v24, s29
	v_add_nc_u32_e32 v1, v24, v1
	s_delay_alu instid0(VALU_DEP_1) | instskip(NEXT) | instid1(VALU_DEP_1)
	v_lshrrev_b32_e32 v25, s49, v1
	v_mul_lo_u32 v1, v25, s25
	s_delay_alu instid0(VALU_DEP_1) | instskip(SKIP_1) | instid1(VALU_DEP_1)
	v_sub_nc_u32_e32 v24, v24, v1
	v_mul_hi_u32 v1, v25, s28
	v_add_nc_u32_e32 v1, v25, v1
	s_delay_alu instid0(VALU_DEP_1) | instskip(SKIP_2) | instid1(VALU_DEP_2)
	v_lshrrev_b32_e32 v1, s48, v1
	s_waitcnt vmcnt(0)
	v_cndmask_b32_e64 v33, 0, v28, s3
	v_mul_lo_u32 v28, v1, s24
	v_cndmask_b32_e64 v32, 0, v29, s3
	v_cndmask_b32_e64 v34, 0, v27, s3
	v_sub_nc_u32_e32 v27, v24, v37
	v_sub_nc_u32_e32 v29, v1, v38
	v_cndmask_b32_e64 v31, 0, v30, s3
	v_sub_nc_u32_e32 v30, v0, v36
	v_cmp_gt_i32_e64 s3, s68, v35
	v_sub_nc_u32_e32 v25, v25, v28
	v_mul_lo_u32 v36, v27, s66
	v_mul_lo_u32 v38, v29, s64
	;; [unrolled: 1-line block ×3, first 2 shown]
	s_delay_alu instid0(VALU_DEP_4) | instskip(NEXT) | instid1(VALU_DEP_4)
	v_sub_nc_u32_e32 v28, v25, v39
	v_add_nc_u32_e32 v27, v36, v40
	s_delay_alu instid0(VALU_DEP_2)
	v_mul_lo_u32 v37, v28, s62
	v_add_nc_u32_e32 v29, v38, v42
	v_mul_lo_u32 v38, v38, s45
	v_mul_lo_u32 v36, v36, s47
	v_cmp_le_i32_e64 s4, s23, v27
	v_cmp_gt_i32_e64 s5, s22, v27
	v_add_nc_u32_e32 v28, v37, v41
	v_mul_lo_u32 v37, v37, s46
	s_delay_alu instid0(VALU_DEP_3) | instskip(SKIP_4) | instid1(VALU_DEP_3)
	s_and_b32 s4, s4, s5
	v_add3_u32 v30, v36, v30, v38
	s_and_b32 s5, s3, s4
	v_cmp_le_i32_e64 s3, s20, v28
	v_cmp_gt_i32_e64 s4, s19, v28
	v_add3_u32 v30, v30, v43, v37
	s_delay_alu instid0(VALU_DEP_2) | instskip(SKIP_2) | instid1(VALU_DEP_2)
	s_and_b32 s3, s3, s4
	v_cmp_gt_i32_e64 s4, s16, v29
	s_and_b32 s5, s5, s3
	v_lshlrev_b32_e32 v36, 1, v30
	v_cmp_le_i32_e64 s3, s17, v29
	buffer_load_b128 v[38:41], v36, s[36:39], 0 offen
	s_and_b32 s3, s3, s4
	s_delay_alu instid0(SALU_CYCLE_1) | instskip(NEXT) | instid1(SALU_CYCLE_1)
	s_and_b32 s3, s3, s5
	s_and_b32 s3, vcc_lo, s3
	s_waitcnt vmcnt(0)
	v_cndmask_b32_e64 v37, 0, v39, s3
	v_add_nc_u32_e32 v39, v17, v22
	v_cndmask_b32_e64 v35, 0, v41, s3
	v_cndmask_b32_e64 v36, 0, v40, s3
	;; [unrolled: 1-line block ×3, first 2 shown]
	v_cmp_gt_i32_e64 s3, s70, v9
	buffer_load_b128 v[42:45], v39, s[12:15], 0 offen
	v_add_nc_u32_e32 v9, s65, v9
	s_and_b32 s3, s2, s3
	s_waitcnt vmcnt(0)
	v_cndmask_b32_e64 v41, 0, v43, s3
	v_add_nc_u32_e32 v43, v16, v22
	v_cndmask_b32_e64 v39, 0, v45, s3
	v_cndmask_b32_e64 v40, 0, v44, s3
	v_cndmask_b32_e64 v42, 0, v42, s3
	v_cmp_gt_i32_e64 s3, s70, v8
	buffer_load_b128 v[46:49], v43, s[12:15], 0 offen
	s_waitcnt vmcnt(0) lgkmcnt(0)
	s_barrier
	v_add_nc_u32_e32 v8, s65, v8
	s_and_b32 s3, s2, s3
	s_delay_alu instid0(SALU_CYCLE_1)
	v_cndmask_b32_e64 v43, 0, v49, s3
	v_cndmask_b32_e64 v44, 0, v48, s3
	;; [unrolled: 1-line block ×3, first 2 shown]
	ds_load_b128 v[47:50], v160
	ds_load_b128 v[51:54], v161 offset:16384
	ds_load_b128 v[55:58], v161 offset:16640
	;; [unrolled: 1-line block ×3, first 2 shown]
	v_cndmask_b32_e64 v46, 0, v46, s3
	s_waitcnt lgkmcnt(1)
	v_dual_dot2acc_f32_f16 v159, v47, v51 :: v_dual_dot2acc_f32_f16 v148, v49, v56
	v_dot2acc_f32_f16 v158, v47, v52
	v_dot2acc_f32_f16 v130, v47, v53
	;; [unrolled: 1-line block ×6, first 2 shown]
	v_dual_dot2acc_f32_f16 v120, v48, v54 :: v_dual_dot2acc_f32_f16 v151, v49, v51
	v_dot2acc_f32_f16 v150, v49, v52
	v_dot2acc_f32_f16 v118, v49, v53
	;; [unrolled: 1-line block ×9, first 2 shown]
	v_dual_dot2acc_f32_f16 v125, v47, v57 :: v_dual_dot2acc_f32_f16 v116, v49, v58
	v_dual_dot2acc_f32_f16 v124, v47, v58 :: v_dual_dot2acc_f32_f16 v153, v48, v55
	v_dot2acc_f32_f16 v152, v48, v56
	v_dual_dot2acc_f32_f16 v122, v48, v57 :: v_dual_dot2acc_f32_f16 v149, v49, v55
	v_dual_dot2acc_f32_f16 v123, v48, v58 :: v_dual_dot2acc_f32_f16 v144, v50, v56
	s_waitcnt lgkmcnt(0)
	v_dual_dot2acc_f32_f16 v117, v49, v57 :: v_dual_dot2acc_f32_f16 v142, v59, v52
	v_dual_dot2acc_f32_f16 v145, v50, v55 :: v_dual_dot2acc_f32_f16 v96, v59, v53
	;; [unrolled: 1-line block ×4, first 2 shown]
	ds_load_b128 v[47:50], v160 offset:512
	v_dual_dot2acc_f32_f16 v97, v59, v54 :: v_dual_dot2acc_f32_f16 v132, v61, v51
	v_dual_dot2acc_f32_f16 v139, v60, v51 :: v_dual_dot2acc_f32_f16 v104, v61, v54
	v_dual_dot2acc_f32_f16 v103, v60, v53 :: v_dual_dot2acc_f32_f16 v126, v62, v51
	v_dual_dot2acc_f32_f16 v102, v60, v54 :: v_dual_dot2acc_f32_f16 v131, v61, v52
	v_dual_dot2acc_f32_f16 v105, v61, v53 :: v_dual_dot2acc_f32_f16 v140, v59, v56
	v_dual_dot2acc_f32_f16 v133, v62, v52 :: v_dual_dot2acc_f32_f16 v98, v59, v57
	v_dual_dot2acc_f32_f16 v110, v62, v53 :: v_dual_dot2acc_f32_f16 v141, v59, v55
	v_dual_dot2acc_f32_f16 v113, v62, v54 :: v_dual_dot2acc_f32_f16 v136, v60, v56
	ds_load_b128 v[51:54], v161 offset:16896
	v_dual_dot2acc_f32_f16 v99, v59, v58 :: v_dual_dot2acc_f32_f16 v128, v61, v55
	v_dual_dot2acc_f32_f16 v137, v60, v55 :: v_dual_dot2acc_f32_f16 v106, v61, v58
	v_dual_dot2acc_f32_f16 v101, v60, v57 :: v_dual_dot2acc_f32_f16 v134, v62, v55
	v_dual_dot2acc_f32_f16 v100, v60, v58 :: v_dual_dot2acc_f32_f16 v127, v61, v56
	v_dot2acc_f32_f16 v107, v61, v57
	v_dot2acc_f32_f16 v135, v62, v56
	v_dot2acc_f32_f16 v108, v62, v57
	v_dot2acc_f32_f16 v109, v62, v58
	ds_load_b128 v[55:58], v161 offset:17152
	ds_load_b128 v[59:62], v160 offset:768
	s_waitcnt lgkmcnt(2)
	v_dual_dot2acc_f32_f16 v154, v48, v52 :: v_dual_dot2acc_f32_f16 v159, v47, v51
	v_dot2acc_f32_f16 v158, v47, v52
	v_dot2acc_f32_f16 v130, v47, v53
	v_dual_dot2acc_f32_f16 v129, v47, v54 :: v_dual_dot2acc_f32_f16 v150, v49, v52
	v_dual_dot2acc_f32_f16 v155, v48, v51 :: v_dual_dot2acc_f32_f16 v118, v49, v53
	v_dual_dot2acc_f32_f16 v121, v48, v53 :: v_dual_dot2acc_f32_f16 v146, v50, v52
	v_dual_dot2acc_f32_f16 v120, v48, v54 :: v_dual_dot2acc_f32_f16 v151, v49, v51
	v_dual_dot2acc_f32_f16 v119, v49, v54 :: v_dual_dot2acc_f32_f16 v112, v50, v53
	s_waitcnt lgkmcnt(1)
	v_dual_dot2acc_f32_f16 v147, v50, v51 :: v_dual_dot2acc_f32_f16 v156, v47, v56
	v_dual_dot2acc_f32_f16 v111, v50, v54 :: v_dual_dot2acc_f32_f16 v152, v48, v56
	v_dual_dot2acc_f32_f16 v157, v47, v55 :: v_dual_dot2acc_f32_f16 v122, v48, v57
	v_dual_dot2acc_f32_f16 v125, v47, v57 :: v_dual_dot2acc_f32_f16 v148, v49, v56
	v_dual_dot2acc_f32_f16 v124, v47, v58 :: v_dual_dot2acc_f32_f16 v153, v48, v55
	v_dual_dot2acc_f32_f16 v123, v48, v58 :: v_dual_dot2acc_f32_f16 v144, v50, v56
	v_dual_dot2acc_f32_f16 v149, v49, v55 :: v_dual_dot2acc_f32_f16 v114, v50, v57
	s_waitcnt lgkmcnt(0)
	v_dual_dot2acc_f32_f16 v117, v49, v57 :: v_dual_dot2acc_f32_f16 v142, v59, v52
	v_dual_dot2acc_f32_f16 v116, v49, v58 :: v_dual_dot2acc_f32_f16 v145, v50, v55
	v_dual_dot2acc_f32_f16 v115, v50, v58 :: v_dual_dot2acc_f32_f16 v96, v59, v53
	ds_load_b128 v[47:50], v160 offset:1024
	v_dual_dot2acc_f32_f16 v143, v59, v51 :: v_dual_dot2acc_f32_f16 v138, v60, v52
	v_dual_dot2acc_f32_f16 v97, v59, v54 :: v_dual_dot2acc_f32_f16 v132, v61, v51
	v_dual_dot2acc_f32_f16 v139, v60, v51 :: v_dual_dot2acc_f32_f16 v104, v61, v54
	v_dual_dot2acc_f32_f16 v103, v60, v53 :: v_dual_dot2acc_f32_f16 v126, v62, v51
	v_dual_dot2acc_f32_f16 v102, v60, v54 :: v_dual_dot2acc_f32_f16 v131, v61, v52
	v_dual_dot2acc_f32_f16 v105, v61, v53 :: v_dual_dot2acc_f32_f16 v140, v59, v56
	v_dual_dot2acc_f32_f16 v133, v62, v52 :: v_dual_dot2acc_f32_f16 v98, v59, v57
	v_dual_dot2acc_f32_f16 v110, v62, v53 :: v_dual_dot2acc_f32_f16 v141, v59, v55
	v_dual_dot2acc_f32_f16 v113, v62, v54 :: v_dual_dot2acc_f32_f16 v136, v60, v56
	ds_load_b128 v[51:54], v161 offset:17408
	v_dual_dot2acc_f32_f16 v99, v59, v58 :: v_dual_dot2acc_f32_f16 v128, v61, v55
	v_dual_dot2acc_f32_f16 v137, v60, v55 :: v_dual_dot2acc_f32_f16 v106, v61, v58
	v_dual_dot2acc_f32_f16 v101, v60, v57 :: v_dual_dot2acc_f32_f16 v134, v62, v55
	v_dual_dot2acc_f32_f16 v100, v60, v58 :: v_dual_dot2acc_f32_f16 v127, v61, v56
	v_dot2acc_f32_f16 v107, v61, v57
	v_dot2acc_f32_f16 v135, v62, v56
	v_dot2acc_f32_f16 v108, v62, v57
	v_dot2acc_f32_f16 v109, v62, v58
	ds_load_b128 v[55:58], v161 offset:17664
	ds_load_b128 v[59:62], v160 offset:1280
	s_waitcnt lgkmcnt(2)
	v_dual_dot2acc_f32_f16 v154, v48, v52 :: v_dual_dot2acc_f32_f16 v159, v47, v51
	v_dot2acc_f32_f16 v158, v47, v52
	v_dot2acc_f32_f16 v130, v47, v53
	v_dual_dot2acc_f32_f16 v129, v47, v54 :: v_dual_dot2acc_f32_f16 v150, v49, v52
	v_dual_dot2acc_f32_f16 v155, v48, v51 :: v_dual_dot2acc_f32_f16 v118, v49, v53
	v_dual_dot2acc_f32_f16 v121, v48, v53 :: v_dual_dot2acc_f32_f16 v146, v50, v52
	v_dual_dot2acc_f32_f16 v120, v48, v54 :: v_dual_dot2acc_f32_f16 v151, v49, v51
	v_dual_dot2acc_f32_f16 v119, v49, v54 :: v_dual_dot2acc_f32_f16 v112, v50, v53
	s_waitcnt lgkmcnt(1)
	v_dual_dot2acc_f32_f16 v147, v50, v51 :: v_dual_dot2acc_f32_f16 v156, v47, v56
	v_dual_dot2acc_f32_f16 v111, v50, v54 :: v_dual_dot2acc_f32_f16 v152, v48, v56
	v_dual_dot2acc_f32_f16 v157, v47, v55 :: v_dual_dot2acc_f32_f16 v122, v48, v57
	v_dual_dot2acc_f32_f16 v125, v47, v57 :: v_dual_dot2acc_f32_f16 v148, v49, v56
	v_dual_dot2acc_f32_f16 v124, v47, v58 :: v_dual_dot2acc_f32_f16 v153, v48, v55
	v_dual_dot2acc_f32_f16 v123, v48, v58 :: v_dual_dot2acc_f32_f16 v144, v50, v56
	v_dual_dot2acc_f32_f16 v149, v49, v55 :: v_dual_dot2acc_f32_f16 v114, v50, v57
	s_waitcnt lgkmcnt(0)
	v_dual_dot2acc_f32_f16 v117, v49, v57 :: v_dual_dot2acc_f32_f16 v142, v59, v52
	v_dual_dot2acc_f32_f16 v116, v49, v58 :: v_dual_dot2acc_f32_f16 v145, v50, v55
	v_dual_dot2acc_f32_f16 v115, v50, v58 :: v_dual_dot2acc_f32_f16 v96, v59, v53
	ds_load_b128 v[47:50], v160 offset:1536
	v_dual_dot2acc_f32_f16 v143, v59, v51 :: v_dual_dot2acc_f32_f16 v138, v60, v52
	;; [unrolled: 42-line block ×14, first 2 shown]
	v_dual_dot2acc_f32_f16 v97, v59, v54 :: v_dual_dot2acc_f32_f16 v132, v61, v51
	v_dual_dot2acc_f32_f16 v139, v60, v51 :: v_dual_dot2acc_f32_f16 v104, v61, v54
	;; [unrolled: 1-line block ×8, first 2 shown]
	ds_load_b128 v[51:54], v161 offset:24064
	v_dual_dot2acc_f32_f16 v99, v59, v58 :: v_dual_dot2acc_f32_f16 v128, v61, v55
	v_dual_dot2acc_f32_f16 v137, v60, v55 :: v_dual_dot2acc_f32_f16 v106, v61, v58
	;; [unrolled: 1-line block ×4, first 2 shown]
	v_dot2acc_f32_f16 v107, v61, v57
	v_dot2acc_f32_f16 v135, v62, v56
	;; [unrolled: 1-line block ×4, first 2 shown]
	ds_load_b128 v[55:58], v161 offset:24320
	ds_load_b128 v[59:62], v160 offset:7936
	ds_store_2addr_stride64_b32 v164, v34, v33 offset0:32 offset1:34
	ds_store_2addr_stride64_b32 v164, v32, v31 offset0:36 offset1:38
	ds_store_b32 v165, v38 offset:2048
	ds_store_2addr_stride64_b32 v164, v37, v36 offset0:42 offset1:44
	ds_store_2addr_stride64_b32 v164, v35, v42 offset0:46 offset1:96
	;; [unrolled: 1-line block ×3, first 2 shown]
	ds_store_b32 v166, v46 offset:2048
	ds_store_2addr_stride64_b32 v164, v39, v45 offset0:102 offset1:106
	ds_store_2addr_stride64_b32 v164, v44, v43 offset0:108 offset1:110
	v_add_nc_u32_e32 v31, s53, v12
	s_waitcnt lgkmcnt(11)
	v_dual_dot2acc_f32_f16 v154, v48, v52 :: v_dual_dot2acc_f32_f16 v159, v47, v51
	v_dot2acc_f32_f16 v130, v47, v53
	s_delay_alu instid0(VALU_DEP_3) | instskip(SKIP_3) | instid1(VALU_DEP_4)
	v_add_nc_u32_e32 v23, v31, v23
	v_dot2acc_f32_f16 v158, v47, v52
	v_cmp_gt_i32_e64 s3, s68, v31
	v_dual_dot2acc_f32_f16 v129, v47, v54 :: v_dual_dot2acc_f32_f16 v150, v49, v52
	v_lshrrev_b32_e32 v23, s50, v23
	v_dual_dot2acc_f32_f16 v155, v48, v51 :: v_dual_dot2acc_f32_f16 v118, v49, v53
	v_dual_dot2acc_f32_f16 v121, v48, v53 :: v_dual_dot2acc_f32_f16 v146, v50, v52
	s_waitcnt lgkmcnt(9)
	v_dot2acc_f32_f16 v108, v62, v57
	v_mad_u64_u32 v[32:33], null, s75, v23, v[31:32]
	v_mul_hi_u32 v33, v23, s29
	v_dual_dot2acc_f32_f16 v120, v48, v54 :: v_dual_dot2acc_f32_f16 v151, v49, v51
	v_dual_dot2acc_f32_f16 v147, v50, v51 :: v_dual_dot2acc_f32_f16 v156, v47, v56
	;; [unrolled: 1-line block ×3, first 2 shown]
	v_sub_nc_u32_e32 v0, v32, v0
	v_add_nc_u32_e32 v33, v23, v33
	v_dual_dot2acc_f32_f16 v111, v50, v54 :: v_dual_dot2acc_f32_f16 v152, v48, v56
	v_dual_dot2acc_f32_f16 v157, v47, v55 :: v_dual_dot2acc_f32_f16 v122, v48, v57
	s_delay_alu instid0(VALU_DEP_3) | instskip(SKIP_3) | instid1(VALU_DEP_4)
	v_lshrrev_b32_e32 v33, s49, v33
	v_mul_lo_u32 v0, v0, s69
	v_dual_dot2acc_f32_f16 v125, v47, v57 :: v_dual_dot2acc_f32_f16 v148, v49, v56
	v_dual_dot2acc_f32_f16 v124, v47, v58 :: v_dual_dot2acc_f32_f16 v153, v48, v55
	v_mul_lo_u32 v34, v33, s25
	v_dual_dot2acc_f32_f16 v123, v48, v58 :: v_dual_dot2acc_f32_f16 v144, v50, v56
	v_dual_dot2acc_f32_f16 v149, v49, v55 :: v_dual_dot2acc_f32_f16 v114, v50, v57
	v_dual_dot2acc_f32_f16 v117, v49, v57 :: v_dual_dot2acc_f32_f16 v142, v59, v52
	v_dual_dot2acc_f32_f16 v116, v49, v58 :: v_dual_dot2acc_f32_f16 v145, v50, v55
	v_sub_nc_u32_e32 v34, v23, v34
	v_dual_dot2acc_f32_f16 v115, v50, v58 :: v_dual_dot2acc_f32_f16 v96, v59, v53
	v_dual_dot2acc_f32_f16 v143, v59, v51 :: v_dual_dot2acc_f32_f16 v138, v60, v52
	s_delay_alu instid0(VALU_DEP_3) | instskip(SKIP_3) | instid1(VALU_DEP_4)
	v_sub_nc_u32_e32 v23, v34, v24
	v_mul_hi_u32 v24, v33, s28
	v_dot2acc_f32_f16 v109, v62, v58
	v_dual_dot2acc_f32_f16 v97, v59, v54 :: v_dual_dot2acc_f32_f16 v132, v61, v51
	v_mul_lo_u32 v23, v23, s66
	v_dot2acc_f32_f16 v107, v61, v57
	v_dual_dot2acc_f32_f16 v139, v60, v51 :: v_dual_dot2acc_f32_f16 v104, v61, v54
	v_dual_dot2acc_f32_f16 v103, v60, v53 :: v_dual_add_nc_u32 v24, v33, v24
	v_dot2acc_f32_f16 v126, v62, v51
	v_dual_dot2acc_f32_f16 v102, v60, v54 :: v_dual_dot2acc_f32_f16 v131, v61, v52
	s_delay_alu instid0(VALU_DEP_3) | instskip(SKIP_3) | instid1(VALU_DEP_4)
	v_lshrrev_b32_e32 v35, s48, v24
	v_add_nc_u32_e32 v36, v23, v27
	v_mul_lo_u32 v23, v23, s47
	v_dual_dot2acc_f32_f16 v105, v61, v53 :: v_dual_dot2acc_f32_f16 v140, v59, v56
	v_mul_lo_u32 v24, v35, s24
	v_sub_nc_u32_e32 v1, v35, v1
	v_cmp_le_i32_e64 s4, s23, v36
	v_cmp_gt_i32_e64 s5, s22, v36
	v_dual_dot2acc_f32_f16 v133, v62, v52 :: v_dual_dot2acc_f32_f16 v98, v59, v57
	s_delay_alu instid0(VALU_DEP_4)
	v_mul_lo_u32 v1, v1, s64
	v_dot2acc_f32_f16 v135, v62, v56
	v_sub_nc_u32_e32 v33, v33, v24
	s_and_b32 s4, s4, s5
	v_dual_dot2acc_f32_f16 v110, v62, v53 :: v_dual_dot2acc_f32_f16 v141, v59, v55
	s_and_b32 s5, s3, s4
	s_delay_alu instid0(VALU_DEP_2) | instskip(SKIP_3) | instid1(VALU_DEP_4)
	v_sub_nc_u32_e32 v24, v33, v25
	v_add_nc_u32_e32 v38, v1, v29
	v_mul_lo_u32 v1, v1, s45
	v_dual_dot2acc_f32_f16 v113, v62, v54 :: v_dual_dot2acc_f32_f16 v136, v60, v56
	v_mul_lo_u32 v24, v24, s62
	v_dual_dot2acc_f32_f16 v99, v59, v58 :: v_dual_dot2acc_f32_f16 v128, v61, v55
	v_dual_dot2acc_f32_f16 v137, v60, v55 :: v_dual_dot2acc_f32_f16 v106, v61, v58
	v_add3_u32 v0, v23, v0, v1
	v_dual_dot2acc_f32_f16 v101, v60, v57 :: v_dual_dot2acc_f32_f16 v134, v62, v55
	v_add_nc_u32_e32 v37, v24, v28
	v_mul_lo_u32 v24, v24, s46
	v_dual_dot2acc_f32_f16 v100, v60, v58 :: v_dual_dot2acc_f32_f16 v127, v61, v56
	s_delay_alu instid0(VALU_DEP_3) | instskip(SKIP_1) | instid1(VALU_DEP_4)
	v_cmp_le_i32_e64 s3, s20, v37
	v_cmp_gt_i32_e64 s4, s19, v37
	v_add3_u32 v39, v0, v24, v30
	s_delay_alu instid0(VALU_DEP_2) | instskip(SKIP_2) | instid1(VALU_DEP_2)
	s_and_b32 s3, s3, s4
	v_cmp_gt_i32_e64 s4, s16, v38
	s_and_b32 s5, s5, s3
	v_lshlrev_b32_e32 v0, 1, v39
	v_cmp_le_i32_e64 s3, s17, v38
	buffer_load_b128 v[27:30], v0, s[36:39], 0 offen
	s_and_b32 s3, s3, s4
	s_delay_alu instid0(SALU_CYCLE_1) | instskip(NEXT) | instid1(SALU_CYCLE_1)
	s_and_b32 s3, s3, s5
	s_and_b32 s3, vcc_lo, s3
	s_waitcnt vmcnt(0)
	v_cndmask_b32_e64 v25, 0, v27, s3
	v_add_nc_u32_e32 v27, s53, v13
	v_cndmask_b32_e64 v23, 0, v29, s3
	v_cndmask_b32_e64 v0, 0, v30, s3
	;; [unrolled: 1-line block ×3, first 2 shown]
	s_add_i32 s3, s18, s55
	v_add_nc_u32_e32 v1, v27, v26
	v_add3_u32 v3, s3, s3, v3
	v_cmp_gt_i32_e64 s3, s68, v27
	s_add_i32 s53, s53, s74
	s_delay_alu instid0(VALU_DEP_3) | instskip(NEXT) | instid1(VALU_DEP_1)
	v_lshrrev_b32_e32 v26, s50, v1
	v_mul_hi_u32 v29, v26, s29
	v_mul_lo_u32 v81, s75, v26
	v_mul_lo_u32 v1, v26, s26
	s_delay_alu instid0(VALU_DEP_3) | instskip(NEXT) | instid1(VALU_DEP_3)
	v_add_nc_u32_e32 v29, v26, v29
	v_add_nc_u32_e32 v28, v27, v81
	s_delay_alu instid0(VALU_DEP_3) | instskip(NEXT) | instid1(VALU_DEP_3)
	v_sub_nc_u32_e32 v1, v3, v1
	v_lshrrev_b32_e32 v29, s49, v29
	s_delay_alu instid0(VALU_DEP_3) | instskip(NEXT) | instid1(VALU_DEP_2)
	v_sub_nc_u32_e32 v28, v28, v32
	v_mul_lo_u32 v30, v29, s25
	s_delay_alu instid0(VALU_DEP_2) | instskip(NEXT) | instid1(VALU_DEP_2)
	v_mul_lo_u32 v28, v28, s69
	v_sub_nc_u32_e32 v89, v26, v30
	v_mul_hi_u32 v30, v29, s28
	s_delay_alu instid0(VALU_DEP_2) | instskip(NEXT) | instid1(VALU_DEP_2)
	v_sub_nc_u32_e32 v26, v89, v34
	v_add_nc_u32_e32 v30, v29, v30
	s_delay_alu instid0(VALU_DEP_2) | instskip(NEXT) | instid1(VALU_DEP_2)
	v_mul_lo_u32 v26, v26, s66
	v_lshrrev_b32_e32 v88, s48, v30
	s_delay_alu instid0(VALU_DEP_2) | instskip(NEXT) | instid1(VALU_DEP_2)
	v_add_nc_u32_e32 v168, v26, v36
	v_mul_lo_u32 v30, v88, s24
	v_mul_lo_u32 v26, v26, s47
	s_delay_alu instid0(VALU_DEP_3) | instskip(SKIP_1) | instid1(VALU_DEP_4)
	v_cmp_le_i32_e64 s4, s23, v168
	v_cmp_gt_i32_e64 s5, s22, v168
	v_sub_nc_u32_e32 v90, v29, v30
	v_sub_nc_u32_e32 v30, v88, v35
	s_delay_alu instid0(VALU_DEP_3) | instskip(NEXT) | instid1(SALU_CYCLE_1)
	s_and_b32 s4, s4, s5
	s_and_b32 s5, s3, s4
	s_delay_alu instid0(VALU_DEP_2) | instskip(NEXT) | instid1(VALU_DEP_2)
	v_sub_nc_u32_e32 v29, v90, v33
	v_mul_lo_u32 v30, v30, s64
	s_delay_alu instid0(VALU_DEP_2) | instskip(NEXT) | instid1(VALU_DEP_2)
	v_mul_lo_u32 v29, v29, s62
	v_add_nc_u32_e32 v169, v30, v38
	v_mul_lo_u32 v30, v30, s45
	s_delay_alu instid0(VALU_DEP_3) | instskip(SKIP_1) | instid1(VALU_DEP_3)
	v_add_nc_u32_e32 v167, v29, v37
	v_mul_lo_u32 v29, v29, s46
	v_add3_u32 v26, v26, v28, v30
	s_delay_alu instid0(VALU_DEP_3) | instskip(SKIP_1) | instid1(VALU_DEP_3)
	v_cmp_le_i32_e64 s3, s20, v167
	v_cmp_gt_i32_e64 s4, s19, v167
	v_add3_u32 v91, v26, v29, v39
	s_delay_alu instid0(VALU_DEP_2) | instskip(SKIP_2) | instid1(VALU_DEP_2)
	s_and_b32 s3, s3, s4
	v_cmp_gt_i32_e64 s4, s16, v169
	s_and_b32 s5, s5, s3
	v_lshlrev_b32_e32 v26, 1, v91
	v_cmp_le_i32_e64 s3, s17, v169
	buffer_load_b128 v[26:29], v26, s[36:39], 0 offen
	s_and_b32 s3, s3, s4
	s_delay_alu instid0(SALU_CYCLE_1) | instskip(NEXT) | instid1(SALU_CYCLE_1)
	s_and_b32 s3, s3, s5
	s_and_b32 s3, vcc_lo, s3
	s_waitcnt vmcnt(0)
	v_cndmask_b32_e64 v33, 0, v26, s3
	v_add_nc_u32_e32 v26, v15, v22
	v_cndmask_b32_e64 v30, 0, v29, s3
	v_cndmask_b32_e64 v31, 0, v28, s3
	;; [unrolled: 1-line block ×3, first 2 shown]
	v_cmp_gt_i32_e64 s3, s70, v7
	buffer_load_b128 v[34:37], v26, s[12:15], 0 offen
	v_add_nc_u32_e32 v7, s65, v7
	s_and_b32 s3, s2, s3
	s_waitcnt vmcnt(0)
	v_cndmask_b32_e64 v29, 0, v34, s3
	v_add_nc_u32_e32 v34, v14, v22
	v_cndmask_b32_e64 v26, 0, v37, s3
	v_cndmask_b32_e64 v27, 0, v36, s3
	;; [unrolled: 1-line block ×3, first 2 shown]
	s_add_i32 s3, s44, s57
	buffer_load_b128 v[37:40], v34, s[12:15], 0 offen
	v_add3_u32 v4, s3, s3, v4
	v_cmp_gt_i32_e64 s3, s70, v6
	s_waitcnt vmcnt(0) lgkmcnt(0)
	s_barrier
	v_add_nc_u32_e32 v6, s65, v6
	v_add_nc_u32_e32 v22, s67, v22
	s_and_b32 s3, s2, s3
	s_cmp_lt_i32 s63, s21
	v_cndmask_b32_e64 v34, 0, v40, s3
	v_cndmask_b32_e64 v35, 0, v39, s3
	;; [unrolled: 1-line block ×3, first 2 shown]
	ds_load_b128 v[38:41], v160 offset:8192
	ds_load_b128 v[42:45], v161 offset:24576
	;; [unrolled: 1-line block ×4, first 2 shown]
	v_cndmask_b32_e64 v37, 0, v37, s3
	s_waitcnt lgkmcnt(2)
	v_dot2acc_f32_f16 v111, v41, v45
	v_dot2acc_f32_f16 v159, v38, v42
	;; [unrolled: 1-line block ×8, first 2 shown]
	v_dual_dot2acc_f32_f16 v120, v39, v45 :: v_dual_dot2acc_f32_f16 v151, v40, v42
	v_dot2acc_f32_f16 v150, v40, v43
	v_dot2acc_f32_f16 v118, v40, v44
	;; [unrolled: 1-line block ×3, first 2 shown]
	s_waitcnt lgkmcnt(1)
	v_dual_dot2acc_f32_f16 v147, v41, v42 :: v_dual_dot2acc_f32_f16 v124, v38, v49
	v_dot2acc_f32_f16 v146, v41, v43
	v_dual_dot2acc_f32_f16 v112, v41, v44 :: v_dual_dot2acc_f32_f16 v157, v38, v46
	v_dot2acc_f32_f16 v156, v38, v47
	v_dual_dot2acc_f32_f16 v125, v38, v48 :: v_dual_dot2acc_f32_f16 v152, v39, v47
	v_dual_dot2acc_f32_f16 v153, v39, v46 :: v_dual_dot2acc_f32_f16 v148, v40, v47
	v_dual_dot2acc_f32_f16 v122, v39, v48 :: v_dual_dot2acc_f32_f16 v149, v40, v46
	v_dual_dot2acc_f32_f16 v123, v39, v49 :: v_dual_dot2acc_f32_f16 v144, v41, v47
	s_waitcnt lgkmcnt(0)
	v_dual_dot2acc_f32_f16 v117, v40, v48 :: v_dual_dot2acc_f32_f16 v142, v50, v43
	v_dual_dot2acc_f32_f16 v116, v40, v49 :: v_dual_dot2acc_f32_f16 v145, v41, v46
	v_dual_dot2acc_f32_f16 v114, v41, v48 :: v_dual_dot2acc_f32_f16 v143, v50, v42
	v_dual_dot2acc_f32_f16 v115, v41, v49 :: v_dual_dot2acc_f32_f16 v96, v50, v44
	ds_load_b128 v[38:41], v160 offset:8704
	v_dual_dot2acc_f32_f16 v97, v50, v45 :: v_dual_dot2acc_f32_f16 v138, v51, v43
	v_dual_dot2acc_f32_f16 v139, v51, v42 :: v_dual_dot2acc_f32_f16 v104, v52, v45
	v_dual_dot2acc_f32_f16 v103, v51, v44 :: v_dual_dot2acc_f32_f16 v132, v52, v42
	v_dual_dot2acc_f32_f16 v102, v51, v45 :: v_dual_dot2acc_f32_f16 v131, v52, v43
	v_dual_dot2acc_f32_f16 v105, v52, v44 :: v_dual_dot2acc_f32_f16 v126, v53, v42
	v_dual_dot2acc_f32_f16 v133, v53, v43 :: v_dual_dot2acc_f32_f16 v98, v50, v48
	v_dual_dot2acc_f32_f16 v110, v53, v44 :: v_dual_dot2acc_f32_f16 v141, v50, v46
	v_dual_dot2acc_f32_f16 v113, v53, v45 :: v_dual_dot2acc_f32_f16 v140, v50, v47
	ds_load_b128 v[42:45], v161 offset:25088
	v_dual_dot2acc_f32_f16 v99, v50, v49 :: v_dual_dot2acc_f32_f16 v136, v51, v47
	v_dual_dot2acc_f32_f16 v137, v51, v46 :: v_dual_dot2acc_f32_f16 v106, v52, v49
	v_dual_dot2acc_f32_f16 v101, v51, v48 :: v_dual_dot2acc_f32_f16 v128, v52, v46
	v_dual_dot2acc_f32_f16 v100, v51, v49 :: v_dual_dot2acc_f32_f16 v127, v52, v47
	v_dual_dot2acc_f32_f16 v107, v52, v48 :: v_dual_dot2acc_f32_f16 v134, v53, v46
	v_dot2acc_f32_f16 v135, v53, v47
	v_dot2acc_f32_f16 v108, v53, v48
	v_dot2acc_f32_f16 v109, v53, v49
	ds_load_b128 v[46:49], v161 offset:25344
	ds_load_b128 v[50:53], v160 offset:8960
	s_waitcnt lgkmcnt(2)
	v_dot2acc_f32_f16 v158, v38, v43
	v_dot2acc_f32_f16 v159, v38, v42
	v_dot2acc_f32_f16 v130, v38, v44
	v_dual_dot2acc_f32_f16 v129, v38, v45 :: v_dual_dot2acc_f32_f16 v154, v39, v43
	v_dual_dot2acc_f32_f16 v155, v39, v42 :: v_dual_dot2acc_f32_f16 v150, v40, v43
	v_dual_dot2acc_f32_f16 v121, v39, v44 :: v_dual_dot2acc_f32_f16 v146, v41, v43
	v_dual_dot2acc_f32_f16 v120, v39, v45 :: v_dual_dot2acc_f32_f16 v151, v40, v42
	v_dual_dot2acc_f32_f16 v118, v40, v44 :: v_dual_dot2acc_f32_f16 v147, v41, v42
	v_dual_dot2acc_f32_f16 v119, v40, v45 :: v_dual_dot2acc_f32_f16 v112, v41, v44
	s_waitcnt lgkmcnt(1)
	v_dual_dot2acc_f32_f16 v111, v41, v45 :: v_dual_dot2acc_f32_f16 v156, v38, v47
	v_dual_dot2acc_f32_f16 v157, v38, v46 :: v_dual_dot2acc_f32_f16 v152, v39, v47
	v_dual_dot2acc_f32_f16 v125, v38, v48 :: v_dual_dot2acc_f32_f16 v148, v40, v47
	v_dual_dot2acc_f32_f16 v124, v38, v49 :: v_dual_dot2acc_f32_f16 v153, v39, v46
	v_dual_dot2acc_f32_f16 v122, v39, v48 :: v_dual_dot2acc_f32_f16 v149, v40, v46
	v_dual_dot2acc_f32_f16 v123, v39, v49 :: v_dual_dot2acc_f32_f16 v144, v41, v47
	s_waitcnt lgkmcnt(0)
	v_dual_dot2acc_f32_f16 v117, v40, v48 :: v_dual_dot2acc_f32_f16 v142, v50, v43
	v_dual_dot2acc_f32_f16 v116, v40, v49 :: v_dual_dot2acc_f32_f16 v145, v41, v46
	v_dual_dot2acc_f32_f16 v114, v41, v48 :: v_dual_dot2acc_f32_f16 v143, v50, v42
	v_dual_dot2acc_f32_f16 v115, v41, v49 :: v_dual_dot2acc_f32_f16 v96, v50, v44
	ds_load_b128 v[38:41], v160 offset:9216
	v_dual_dot2acc_f32_f16 v97, v50, v45 :: v_dual_dot2acc_f32_f16 v138, v51, v43
	v_dual_dot2acc_f32_f16 v139, v51, v42 :: v_dual_dot2acc_f32_f16 v104, v52, v45
	v_dual_dot2acc_f32_f16 v103, v51, v44 :: v_dual_dot2acc_f32_f16 v132, v52, v42
	v_dual_dot2acc_f32_f16 v102, v51, v45 :: v_dual_dot2acc_f32_f16 v131, v52, v43
	v_dual_dot2acc_f32_f16 v105, v52, v44 :: v_dual_dot2acc_f32_f16 v126, v53, v42
	v_dual_dot2acc_f32_f16 v133, v53, v43 :: v_dual_dot2acc_f32_f16 v98, v50, v48
	v_dual_dot2acc_f32_f16 v110, v53, v44 :: v_dual_dot2acc_f32_f16 v141, v50, v46
	v_dual_dot2acc_f32_f16 v113, v53, v45 :: v_dual_dot2acc_f32_f16 v140, v50, v47
	ds_load_b128 v[42:45], v161 offset:25600
	v_dual_dot2acc_f32_f16 v99, v50, v49 :: v_dual_dot2acc_f32_f16 v136, v51, v47
	v_dual_dot2acc_f32_f16 v137, v51, v46 :: v_dual_dot2acc_f32_f16 v106, v52, v49
	v_dual_dot2acc_f32_f16 v101, v51, v48 :: v_dual_dot2acc_f32_f16 v128, v52, v46
	v_dual_dot2acc_f32_f16 v100, v51, v49 :: v_dual_dot2acc_f32_f16 v127, v52, v47
	v_dual_dot2acc_f32_f16 v107, v52, v48 :: v_dual_dot2acc_f32_f16 v134, v53, v46
	v_dot2acc_f32_f16 v135, v53, v47
	v_dot2acc_f32_f16 v108, v53, v48
	v_dot2acc_f32_f16 v109, v53, v49
	ds_load_b128 v[46:49], v161 offset:25856
	ds_load_b128 v[50:53], v160 offset:9472
	s_waitcnt lgkmcnt(2)
	v_dot2acc_f32_f16 v158, v38, v43
	v_dot2acc_f32_f16 v159, v38, v42
	v_dot2acc_f32_f16 v130, v38, v44
	v_dual_dot2acc_f32_f16 v129, v38, v45 :: v_dual_dot2acc_f32_f16 v154, v39, v43
	v_dual_dot2acc_f32_f16 v155, v39, v42 :: v_dual_dot2acc_f32_f16 v150, v40, v43
	v_dual_dot2acc_f32_f16 v121, v39, v44 :: v_dual_dot2acc_f32_f16 v146, v41, v43
	v_dual_dot2acc_f32_f16 v120, v39, v45 :: v_dual_dot2acc_f32_f16 v151, v40, v42
	v_dual_dot2acc_f32_f16 v118, v40, v44 :: v_dual_dot2acc_f32_f16 v147, v41, v42
	v_dual_dot2acc_f32_f16 v119, v40, v45 :: v_dual_dot2acc_f32_f16 v112, v41, v44
	s_waitcnt lgkmcnt(1)
	v_dual_dot2acc_f32_f16 v111, v41, v45 :: v_dual_dot2acc_f32_f16 v156, v38, v47
	v_dual_dot2acc_f32_f16 v157, v38, v46 :: v_dual_dot2acc_f32_f16 v152, v39, v47
	;; [unrolled: 42-line block ×14, first 2 shown]
	v_dual_dot2acc_f32_f16 v125, v38, v48 :: v_dual_dot2acc_f32_f16 v148, v40, v47
	v_dual_dot2acc_f32_f16 v124, v38, v49 :: v_dual_dot2acc_f32_f16 v153, v39, v46
	;; [unrolled: 1-line block ×4, first 2 shown]
	s_waitcnt lgkmcnt(0)
	v_dual_dot2acc_f32_f16 v117, v40, v48 :: v_dual_dot2acc_f32_f16 v142, v50, v43
	v_dual_dot2acc_f32_f16 v116, v40, v49 :: v_dual_dot2acc_f32_f16 v145, v41, v46
	;; [unrolled: 1-line block ×4, first 2 shown]
	ds_load_b128 v[38:41], v160 offset:15872
	v_dual_dot2acc_f32_f16 v97, v50, v45 :: v_dual_dot2acc_f32_f16 v138, v51, v43
	v_dual_dot2acc_f32_f16 v139, v51, v42 :: v_dual_dot2acc_f32_f16 v104, v52, v45
	;; [unrolled: 1-line block ×8, first 2 shown]
	ds_load_b128 v[42:45], v161 offset:32256
	v_dual_dot2acc_f32_f16 v99, v50, v49 :: v_dual_dot2acc_f32_f16 v136, v51, v47
	v_dual_dot2acc_f32_f16 v137, v51, v46 :: v_dual_dot2acc_f32_f16 v106, v52, v49
	;; [unrolled: 1-line block ×5, first 2 shown]
	v_dot2acc_f32_f16 v135, v53, v47
	v_dot2acc_f32_f16 v108, v53, v48
	;; [unrolled: 1-line block ×3, first 2 shown]
	ds_load_b128 v[46:49], v161 offset:32512
	ds_load_b128 v[50:53], v160 offset:16128
	ds_store_2addr_stride64_b32 v164, v25, v24 offset1:2
	ds_store_2addr_stride64_b32 v164, v23, v0 offset0:4 offset1:6
	ds_store_2addr_stride64_b32 v164, v33, v32 offset0:8 offset1:10
	;; [unrolled: 1-line block ×5, first 2 shown]
	ds_store_b32 v5, v37 offset:2048
	ds_store_2addr_stride64_b32 v164, v36, v35 offset0:74 offset1:76
	ds_store_b32 v164, v34 offset:19968
	s_waitcnt lgkmcnt(11)
	v_dot2acc_f32_f16 v158, v38, v43
	v_dot2acc_f32_f16 v159, v38, v42
	;; [unrolled: 1-line block ×3, first 2 shown]
	v_dual_dot2acc_f32_f16 v129, v38, v45 :: v_dual_dot2acc_f32_f16 v154, v39, v43
	v_dual_dot2acc_f32_f16 v155, v39, v42 :: v_dual_dot2acc_f32_f16 v150, v40, v43
	;; [unrolled: 1-line block ×6, first 2 shown]
	s_waitcnt lgkmcnt(10)
	v_dual_dot2acc_f32_f16 v111, v41, v45 :: v_dual_dot2acc_f32_f16 v156, v38, v47
	v_dual_dot2acc_f32_f16 v157, v38, v46 :: v_dual_dot2acc_f32_f16 v152, v39, v47
	;; [unrolled: 1-line block ×6, first 2 shown]
	s_waitcnt lgkmcnt(9)
	v_dual_dot2acc_f32_f16 v117, v40, v48 :: v_dual_dot2acc_f32_f16 v142, v50, v43
	v_dual_dot2acc_f32_f16 v116, v40, v49 :: v_dual_dot2acc_f32_f16 v145, v41, v46
	;; [unrolled: 1-line block ×17, first 2 shown]
	v_dot2acc_f32_f16 v135, v53, v47
	v_dot2acc_f32_f16 v108, v53, v48
	;; [unrolled: 1-line block ×3, first 2 shown]
	s_cbranch_scc1 .LBB9_1
; %bb.2:
	s_waitcnt lgkmcnt(0)
	s_barrier
	ds_load_b128 v[72:75], v161 offset:16384
	ds_load_b128 v[64:67], v161 offset:16640
	ds_load_b128 v[76:79], v160
	v_add_nc_u32_e32 v0, 4, v2
	v_add_nc_u32_e32 v83, s57, v4
	s_load_b64 s[4:5], s[0:1], 0x10
	s_lshl_b64 s[0:1], s[42:43], 1
	s_mul_i32 s3, s40, s73
	s_mul_hi_u32 s8, s40, s72
	s_mul_i32 s6, s40, s72
	s_add_u32 s40, s60, s0
	s_mul_i32 s7, s41, s72
	s_addc_u32 s41, s61, s1
	s_add_i32 s0, s8, s3
	s_delay_alu instid0(SALU_CYCLE_1) | instskip(NEXT) | instid1(SALU_CYCLE_1)
	s_add_i32 s7, s0, s7
	s_lshl_b64 s[6:7], s[6:7], 1
	s_waitcnt lgkmcnt(0)
	v_dot2acc_f32_f16 v158, v76, v73
	v_dot2acc_f32_f16 v159, v76, v72
	v_mul_lo_u32 v82, s71, v0
	v_dual_dot2acc_f32_f16 v125, v76, v66 :: v_dual_add_nc_u32 v80, v83, v80
	v_cmp_gt_i32_e64 s1, s70, v83
	v_dual_dot2acc_f32_f16 v154, v77, v73 :: v_dual_add_nc_u32 v83, s44, v83
	s_delay_alu instid0(VALU_DEP_3)
	v_dual_dot2acc_f32_f16 v150, v78, v73 :: v_dual_lshlrev_b32 v87, 1, v80
	v_add3_u32 v92, s55, s53, v82
	v_dot2acc_f32_f16 v129, v76, v75
	v_add_lshl_u32 v174, v80, s44, 1
	v_add3_u32 v175, v82, v81, s53
	ds_load_b128 v[68:71], v160 offset:256
	ds_load_b128 v[0:3], v161 offset:16896
	;; [unrolled: 1-line block ×6, first 2 shown]
	v_mul_hi_u32 v20, v92, s30
	v_add_nc_u32_e32 v170, s18, v92
	v_cmp_gt_i32_e64 s3, s70, v83
	v_cmp_gt_i32_e64 s0, s68, v92
	v_dot2acc_f32_f16 v121, v77, v74
	v_dual_dot2acc_f32_f16 v123, v77, v67 :: v_dual_dot2acc_f32_f16 v144, v79, v65
	v_mul_hi_u32 v33, v170, s30
	v_add_nc_u32_e32 v32, v92, v20
	v_dot2acc_f32_f16 v130, v76, v74
	ds_load_b128 v[20:23], v161 offset:17664
	ds_load_b128 v[28:31], v160 offset:1024
	;; [unrolled: 1-line block ×8, first 2 shown]
	v_lshrrev_b32_e32 v171, s50, v32
	s_waitcnt lgkmcnt(13)
	v_dual_dot2acc_f32_f16 v117, v78, v66 :: v_dual_dot2acc_f32_f16 v142, v68, v73
	v_add_nc_u32_e32 v45, v170, v33
	ds_load_b128 v[32:35], v161 offset:18688
	ds_load_b128 v[60:63], v160 offset:2048
	v_mul_hi_u32 v44, v171, s29
	v_mul_lo_u32 v86, v171, s26
	buffer_load_b128 v[80:83], v87, s[12:15], 0 offen
	v_lshrrev_b32_e32 v172, s50, v45
	v_dot2acc_f32_f16 v119, v78, v75
	s_waitcnt lgkmcnt(12)
	v_dual_dot2acc_f32_f16 v123, v13, v7 :: v_dual_dot2acc_f32_f16 v144, v15, v5
	s_waitcnt lgkmcnt(11)
	v_dual_dot2acc_f32_f16 v117, v14, v6 :: v_dual_dot2acc_f32_f16 v142, v8, v1
	v_add_nc_u32_e32 v84, v171, v44
	v_mul_hi_u32 v85, v172, s29
	v_dot2acc_f32_f16 v120, v77, v75
	v_sub_nc_u32_e32 v93, v92, v86
	v_dual_dot2acc_f32_f16 v116, v78, v67 :: v_dual_dot2acc_f32_f16 v145, v79, v64
	v_lshrrev_b32_e32 v173, s49, v84
	v_dual_dot2acc_f32_f16 v155, v77, v72 :: v_dual_dot2acc_f32_f16 v118, v78, v74
	v_add_nc_u32_e32 v85, v172, v85
	v_mad_u64_u32 v[94:95], null, v172, s26, v[93:94]
	s_delay_alu instid0(VALU_DEP_4) | instskip(SKIP_1) | instid1(VALU_DEP_4)
	v_mul_hi_u32 v84, v173, s28
	v_mul_lo_u32 v176, v173, s25
	v_lshrrev_b32_e32 v177, s49, v85
	v_dot2acc_f32_f16 v111, v79, v75
	v_sub_nc_u32_e32 v95, v93, v175
	v_dual_dot2acc_f32_f16 v151, v78, v72 :: v_dual_dot2acc_f32_f16 v112, v79, v74
	s_delay_alu instid0(VALU_DEP_4)
	v_mul_hi_u32 v178, v177, s28
	v_add_nc_u32_e32 v84, v173, v84
	v_sub_nc_u32_e32 v93, v171, v176
	v_dot2acc_f32_f16 v146, v79, v73
	v_sub_nc_u32_e32 v175, v170, v94
	v_dual_dot2acc_f32_f16 v147, v79, v72 :: v_dual_dot2acc_f32_f16 v124, v76, v67
	v_lshrrev_b32_e32 v179, s48, v84
	buffer_load_b128 v[84:87], v174, s[12:15], 0 offen
	v_add_nc_u32_e32 v171, v177, v178
	v_sub_nc_u32_e32 v176, v93, v89
	v_mul_lo_u32 v178, v95, s69
	v_mul_lo_u32 v174, v179, s24
	v_mad_u64_u32 v[94:95], null, v177, s25, v[93:94]
	v_lshrrev_b32_e32 v171, s48, v171
	v_sub_nc_u32_e32 v95, v179, v88
	v_mul_lo_u32 v176, v176, s66
	v_mul_lo_u32 v88, v175, s69
	v_dual_dot2acc_f32_f16 v114, v79, v66 :: v_dual_dot2acc_f32_f16 v143, v68, v72
	v_sub_nc_u32_e32 v89, v173, v174
	v_mul_lo_u32 v173, v95, s64
	v_dual_dot2acc_f32_f16 v139, v69, v72 :: v_dual_dot2acc_f32_f16 v104, v70, v75
	v_dual_dot2acc_f32_f16 v103, v69, v74 :: v_dual_dot2acc_f32_f16 v132, v70, v72
	s_delay_alu instid0(VALU_DEP_4) | instskip(SKIP_4) | instid1(VALU_DEP_4)
	v_mad_u64_u32 v[92:93], null, v171, s24, v[89:90]
	v_sub_nc_u32_e32 v89, v89, v90
	v_sub_nc_u32_e32 v90, v172, v94
	;; [unrolled: 1-line block ×3, first 2 shown]
	v_dual_dot2acc_f32_f16 v105, v70, v74 :: v_dual_dot2acc_f32_f16 v126, v71, v72
	v_mul_lo_u32 v171, v89, s62
	v_sub_nc_u32_e32 v89, v177, v92
	v_mul_lo_u32 v175, v90, s66
	v_mul_lo_u32 v92, v176, s47
	;; [unrolled: 1-line block ×5, first 2 shown]
	s_waitcnt lgkmcnt(8)
	v_dual_dot2acc_f32_f16 v123, v29, v23 :: v_dual_dot2acc_f32_f16 v144, v31, v21
	v_mul_lo_u32 v94, v171, s46
	v_mad_u64_u32 v[89:90], null, v175, s47, v[88:89]
	v_mul_lo_u32 v88, v174, s45
	v_add3_u32 v90, v92, v178, v93
	v_mul_lo_u32 v92, v172, s46
	v_dual_dot2acc_f32_f16 v156, v76, v65 :: v_dual_dot2acc_f32_f16 v117, v30, v22
	s_waitcnt lgkmcnt(7)
	v_dot2acc_f32_f16 v142, v24, v17
	v_add3_u32 v90, v90, v94, v91
	v_dual_dot2acc_f32_f16 v116, v14, v7 :: v_dual_dot2acc_f32_f16 v145, v15, v4
	v_dual_dot2acc_f32_f16 v115, v79, v67 :: v_dual_dot2acc_f32_f16 v96, v68, v74
	v_add3_u32 v88, v89, v88, v92
	s_delay_alu instid0(VALU_DEP_4) | instskip(SKIP_2) | instid1(VALU_DEP_4)
	v_lshlrev_b32_e32 v89, 1, v90
	v_dual_dot2acc_f32_f16 v110, v71, v74 :: v_dual_dot2acc_f32_f16 v141, v68, v64
	v_dual_dot2acc_f32_f16 v108, v71, v66 :: v_dual_dot2acc_f32_f16 v159, v12, v0
	v_add_lshl_u32 v92, v88, v90, 1
	buffer_load_b128 v[88:91], v89, s[36:39], 0 offen
	v_dual_dot2acc_f32_f16 v155, v13, v0 :: v_dual_dot2acc_f32_f16 v150, v14, v1
	v_dual_dot2acc_f32_f16 v120, v13, v3 :: v_dual_dot2acc_f32_f16 v151, v14, v0
	buffer_load_b128 v[92:95], v92, s[36:39], 0 offen
	v_dual_dot2acc_f32_f16 v118, v14, v2 :: v_dual_dot2acc_f32_f16 v147, v15, v0
	v_dual_dot2acc_f32_f16 v114, v15, v6 :: v_dual_dot2acc_f32_f16 v143, v8, v0
	;; [unrolled: 1-line block ×5, first 2 shown]
	s_waitcnt lgkmcnt(4)
	v_dual_dot2acc_f32_f16 v123, v57, v51 :: v_dual_dot2acc_f32_f16 v144, v59, v49
	s_waitcnt lgkmcnt(3)
	v_dual_dot2acc_f32_f16 v117, v58, v50 :: v_dual_dot2acc_f32_f16 v142, v52, v41
	s_waitcnt lgkmcnt(0)
	s_delay_alu instid0(VALU_DEP_2)
	v_dual_dot2acc_f32_f16 v123, v61, v35 :: v_dual_add_nc_u32 v0, v176, v168
	v_dual_dot2acc_f32_f16 v97, v68, v75 :: v_dual_dot2acc_f32_f16 v138, v69, v73
	v_dual_dot2acc_f32_f16 v102, v69, v75 :: v_dual_dot2acc_f32_f16 v131, v70, v73
	;; [unrolled: 1-line block ×15, first 2 shown]
	s_add_u32 s12, s4, s6
	s_addc_u32 s13, s5, s7
	v_dual_dot2acc_f32_f16 v121, v13, v2 :: v_dual_dot2acc_f32_f16 v146, v15, v1
	v_dual_dot2acc_f32_f16 v119, v14, v3 :: v_dual_dot2acc_f32_f16 v112, v15, v2
	;; [unrolled: 1-line block ×4, first 2 shown]
	v_cmp_le_i32_e64 s4, s23, v0
	v_cmp_gt_i32_e64 s5, s22, v0
	v_dual_dot2acc_f32_f16 v117, v62, v34 :: v_dual_add_nc_u32 v0, v175, v0
	v_add_nc_u32_e32 v2, v171, v167
	v_dual_dot2acc_f32_f16 v129, v12, v3 :: v_dual_dot2acc_f32_f16 v154, v13, v1
	v_dual_dot2acc_f32_f16 v97, v8, v3 :: v_dual_dot2acc_f32_f16 v138, v9, v1
	;; [unrolled: 1-line block ×5, first 2 shown]
	v_add_nc_u32_e32 v1, v173, v169
	ds_load_b128 v[44:47], v160 offset:2304
	v_dual_dot2acc_f32_f16 v111, v15, v3 :: v_dual_dot2acc_f32_f16 v156, v12, v5
	v_dual_dot2acc_f32_f16 v157, v12, v4 :: v_dual_dot2acc_f32_f16 v152, v13, v5
	;; [unrolled: 1-line block ×14, first 2 shown]
	v_cmp_le_i32_e64 s6, s23, v0
	v_cmp_gt_i32_e64 s7, s22, v0
	v_add_nc_u32_e32 v0, v172, v2
	v_dot2acc_f32_f16 v116, v62, v35
	s_and_b32 s8, s4, s5
	v_cmp_le_i32_e64 s4, s17, v1
	v_cmp_gt_i32_e64 s5, s16, v1
	v_add_nc_u32_e32 v1, v174, v1
	v_dual_dot2acc_f32_f16 v129, v28, v19 :: v_dual_dot2acc_f32_f16 v154, v29, v17
	v_dual_dot2acc_f32_f16 v155, v29, v16 :: v_dual_dot2acc_f32_f16 v150, v30, v17
	;; [unrolled: 1-line block ×29, first 2 shown]
	ds_load_b128 v[16:19], v160 offset:2560
	ds_load_b128 v[20:23], v161 offset:18944
	;; [unrolled: 1-line block ×4, first 2 shown]
	s_and_b32 s1, s2, s1
	s_and_b32 s2, s2, s3
	v_cmp_gt_i32_e64 s3, s68, v170
	s_and_b32 s15, s6, s7
	v_cmp_le_i32_e64 s6, s20, v2
	v_cmp_gt_i32_e64 s7, s19, v2
	v_cmp_le_i32_e64 s9, s20, v0
	v_cmp_gt_i32_e64 s10, s19, v0
	s_and_b32 s14, s0, s8
	v_cmp_le_i32_e64 s0, s17, v1
	v_cmp_gt_i32_e64 s8, s16, v1
	s_and_b32 s4, s4, s5
	s_and_b32 s3, s3, s15
	;; [unrolled: 1-line block ×7, first 2 shown]
	v_dual_dot2acc_f32_f16 v129, v56, v43 :: v_dual_dot2acc_f32_f16 v154, v57, v41
	v_dual_dot2acc_f32_f16 v155, v57, v40 :: v_dual_dot2acc_f32_f16 v150, v58, v41
	;; [unrolled: 1-line block ×29, first 2 shown]
	s_and_b32 s4, s4, s5
	s_and_b32 s3, s0, s3
	s_and_b32 s0, vcc_lo, s4
	s_and_b32 vcc_lo, vcc_lo, s3
	v_dual_dot2acc_f32_f16 v129, v60, v39 :: v_dual_dot2acc_f32_f16 v154, v61, v37
	v_dual_dot2acc_f32_f16 v155, v61, v36 :: v_dual_dot2acc_f32_f16 v150, v62, v37
	;; [unrolled: 1-line block ×11, first 2 shown]
	s_waitcnt lgkmcnt(4)
	v_dual_dot2acc_f32_f16 v145, v63, v32 :: v_dual_dot2acc_f32_f16 v142, v44, v37
	v_dual_dot2acc_f32_f16 v114, v63, v34 :: v_dual_dot2acc_f32_f16 v143, v44, v36
	;; [unrolled: 1-line block ×16, first 2 shown]
	s_waitcnt lgkmcnt(2)
	v_dual_dot2acc_f32_f16 v135, v47, v33 :: v_dual_dot2acc_f32_f16 v130, v16, v22
	v_dot2acc_f32_f16 v144, v63, v33
	v_dual_dot2acc_f32_f16 v108, v47, v34 :: v_dual_dot2acc_f32_f16 v159, v16, v20
	v_dual_dot2acc_f32_f16 v109, v47, v35 :: v_dual_dot2acc_f32_f16 v158, v16, v21
	;; [unrolled: 1-line block ×6, first 2 shown]
	s_waitcnt vmcnt(0)
	v_dual_cndmask_b32 v11, 0, v92 :: v_dual_dot2acc_f32_f16 v118, v18, v22
	v_dot2acc_f32_f16 v147, v19, v20
	v_dual_dot2acc_f32_f16 v119, v18, v23 :: v_dual_dot2acc_f32_f16 v112, v19, v22
	s_waitcnt lgkmcnt(1)
	v_dual_dot2acc_f32_f16 v111, v19, v23 :: v_dual_dot2acc_f32_f16 v156, v16, v25
	v_dual_dot2acc_f32_f16 v157, v16, v24 :: v_dual_dot2acc_f32_f16 v152, v17, v25
	;; [unrolled: 1-line block ×6, first 2 shown]
	v_dot2acc_f32_f16 v117, v18, v26
	v_dual_dot2acc_f32_f16 v116, v18, v27 :: v_dual_dot2acc_f32_f16 v145, v19, v24
	v_dot2acc_f32_f16 v114, v19, v26
	v_dot2acc_f32_f16 v115, v19, v27
	ds_load_b128 v[16:19], v160 offset:3072
	s_waitcnt lgkmcnt(1)
	v_dot2acc_f32_f16 v96, v28, v22
	v_dot2acc_f32_f16 v143, v28, v20
	;; [unrolled: 1-line block ×3, first 2 shown]
	v_dual_dot2acc_f32_f16 v97, v28, v23 :: v_dual_dot2acc_f32_f16 v138, v29, v21
	v_dual_dot2acc_f32_f16 v139, v29, v20 :: v_dual_dot2acc_f32_f16 v104, v30, v23
	;; [unrolled: 1-line block ×7, first 2 shown]
	ds_load_b128 v[32:35], v161 offset:19456
	v_dual_dot2acc_f32_f16 v113, v31, v23 :: v_dual_dot2acc_f32_f16 v140, v28, v25
	v_dual_dot2acc_f32_f16 v99, v28, v27 :: v_dual_dot2acc_f32_f16 v136, v29, v25
	;; [unrolled: 1-line block ×6, first 2 shown]
	ds_load_b128 v[20:23], v161 offset:19712
	v_dot2acc_f32_f16 v135, v31, v25
	v_dot2acc_f32_f16 v108, v31, v26
	;; [unrolled: 1-line block ×3, first 2 shown]
	ds_load_b128 v[24:27], v160 offset:3328
	ds_load_b128 v[28:31], v161 offset:19968
	v_cndmask_b32_e64 v12, 0, v89, s0
	s_waitcnt lgkmcnt(3)
	v_dot2acc_f32_f16 v159, v16, v32
	v_dot2acc_f32_f16 v158, v16, v33
	;; [unrolled: 1-line block ×3, first 2 shown]
	v_dual_dot2acc_f32_f16 v129, v16, v35 :: v_dual_dot2acc_f32_f16 v154, v17, v33
	v_dual_dot2acc_f32_f16 v155, v17, v32 :: v_dual_dot2acc_f32_f16 v150, v18, v33
	v_dual_dot2acc_f32_f16 v121, v17, v34 :: v_dual_dot2acc_f32_f16 v146, v19, v33
	v_dual_dot2acc_f32_f16 v120, v17, v35 :: v_dual_dot2acc_f32_f16 v151, v18, v32
	v_dual_dot2acc_f32_f16 v118, v18, v34 :: v_dual_dot2acc_f32_f16 v147, v19, v32
	v_dual_dot2acc_f32_f16 v119, v18, v35 :: v_dual_dot2acc_f32_f16 v112, v19, v34
	s_waitcnt lgkmcnt(2)
	v_dual_dot2acc_f32_f16 v111, v19, v35 :: v_dual_dot2acc_f32_f16 v156, v16, v21
	v_dual_dot2acc_f32_f16 v157, v16, v20 :: v_dual_dot2acc_f32_f16 v152, v17, v21
	;; [unrolled: 1-line block ×6, first 2 shown]
	v_dot2acc_f32_f16 v117, v18, v22
	v_dual_dot2acc_f32_f16 v116, v18, v23 :: v_dual_dot2acc_f32_f16 v145, v19, v20
	v_dot2acc_f32_f16 v114, v19, v22
	v_dot2acc_f32_f16 v115, v19, v23
	ds_load_b128 v[16:19], v160 offset:3584
	s_waitcnt lgkmcnt(2)
	v_dot2acc_f32_f16 v96, v24, v34
	v_dot2acc_f32_f16 v143, v24, v32
	;; [unrolled: 1-line block ×3, first 2 shown]
	v_dual_dot2acc_f32_f16 v97, v24, v35 :: v_dual_dot2acc_f32_f16 v138, v25, v33
	v_dual_dot2acc_f32_f16 v139, v25, v32 :: v_dual_dot2acc_f32_f16 v104, v26, v35
	;; [unrolled: 1-line block ×13, first 2 shown]
	ds_load_b128 v[32:35], v161 offset:20224
	s_waitcnt lgkmcnt(1)
	v_dual_dot2acc_f32_f16 v135, v27, v21 :: v_dual_dot2acc_f32_f16 v130, v16, v30
	v_dual_dot2acc_f32_f16 v108, v27, v22 :: v_dual_dot2acc_f32_f16 v159, v16, v28
	;; [unrolled: 1-line block ×3, first 2 shown]
	ds_load_b128 v[20:23], v160 offset:3840
	v_dual_dot2acc_f32_f16 v129, v16, v31 :: v_dual_dot2acc_f32_f16 v154, v17, v29
	v_dual_dot2acc_f32_f16 v155, v17, v28 :: v_dual_dot2acc_f32_f16 v150, v18, v29
	;; [unrolled: 1-line block ×6, first 2 shown]
	s_waitcnt lgkmcnt(1)
	v_dual_dot2acc_f32_f16 v111, v19, v31 :: v_dual_dot2acc_f32_f16 v156, v16, v33
	v_dual_dot2acc_f32_f16 v157, v16, v32 :: v_dual_dot2acc_f32_f16 v152, v17, v33
	;; [unrolled: 1-line block ×6, first 2 shown]
	v_dot2acc_f32_f16 v117, v18, v34
	v_dual_dot2acc_f32_f16 v116, v18, v35 :: v_dual_dot2acc_f32_f16 v145, v19, v32
	v_dot2acc_f32_f16 v114, v19, v34
	v_dot2acc_f32_f16 v115, v19, v35
	ds_load_b128 v[16:19], v160 offset:4096
	s_waitcnt lgkmcnt(1)
	v_dot2acc_f32_f16 v96, v20, v30
	v_dot2acc_f32_f16 v143, v20, v28
	;; [unrolled: 1-line block ×3, first 2 shown]
	v_dual_dot2acc_f32_f16 v97, v20, v31 :: v_dual_dot2acc_f32_f16 v138, v21, v29
	v_dual_dot2acc_f32_f16 v139, v21, v28 :: v_dual_dot2acc_f32_f16 v104, v22, v31
	;; [unrolled: 1-line block ×7, first 2 shown]
	ds_load_b128 v[24:27], v161 offset:20480
	v_dual_dot2acc_f32_f16 v113, v23, v31 :: v_dual_dot2acc_f32_f16 v140, v20, v33
	v_dual_dot2acc_f32_f16 v99, v20, v35 :: v_dual_dot2acc_f32_f16 v136, v21, v33
	;; [unrolled: 1-line block ×6, first 2 shown]
	ds_load_b128 v[28:31], v161 offset:20736
	v_dot2acc_f32_f16 v135, v23, v33
	v_dot2acc_f32_f16 v108, v23, v34
	v_dot2acc_f32_f16 v109, v23, v35
	ds_load_b128 v[20:23], v160 offset:4352
	ds_load_b128 v[32:35], v161 offset:20992
	v_cndmask_b32_e64 v14, 0, v88, s0
	s_waitcnt lgkmcnt(3)
	v_dot2acc_f32_f16 v159, v16, v24
	v_dot2acc_f32_f16 v158, v16, v25
	;; [unrolled: 1-line block ×3, first 2 shown]
	v_dual_dot2acc_f32_f16 v129, v16, v27 :: v_dual_dot2acc_f32_f16 v154, v17, v25
	v_dual_dot2acc_f32_f16 v155, v17, v24 :: v_dual_dot2acc_f32_f16 v150, v18, v25
	;; [unrolled: 1-line block ×6, first 2 shown]
	s_waitcnt lgkmcnt(2)
	v_dual_dot2acc_f32_f16 v111, v19, v27 :: v_dual_dot2acc_f32_f16 v156, v16, v29
	v_dual_dot2acc_f32_f16 v157, v16, v28 :: v_dual_dot2acc_f32_f16 v152, v17, v29
	;; [unrolled: 1-line block ×6, first 2 shown]
	v_dot2acc_f32_f16 v117, v18, v30
	v_dual_dot2acc_f32_f16 v116, v18, v31 :: v_dual_dot2acc_f32_f16 v145, v19, v28
	v_dot2acc_f32_f16 v114, v19, v30
	v_dot2acc_f32_f16 v115, v19, v31
	ds_load_b128 v[16:19], v160 offset:4608
	s_waitcnt lgkmcnt(2)
	v_dot2acc_f32_f16 v96, v20, v26
	v_dot2acc_f32_f16 v143, v20, v24
	;; [unrolled: 1-line block ×3, first 2 shown]
	v_dual_dot2acc_f32_f16 v97, v20, v27 :: v_dual_dot2acc_f32_f16 v138, v21, v25
	v_dual_dot2acc_f32_f16 v139, v21, v24 :: v_dual_dot2acc_f32_f16 v104, v22, v27
	;; [unrolled: 1-line block ×13, first 2 shown]
	ds_load_b128 v[24:27], v161 offset:21248
	s_waitcnt lgkmcnt(1)
	v_dual_dot2acc_f32_f16 v135, v23, v29 :: v_dual_dot2acc_f32_f16 v130, v16, v34
	v_dual_dot2acc_f32_f16 v108, v23, v30 :: v_dual_dot2acc_f32_f16 v159, v16, v32
	;; [unrolled: 1-line block ×3, first 2 shown]
	ds_load_b128 v[20:23], v160 offset:4864
	v_dual_dot2acc_f32_f16 v129, v16, v35 :: v_dual_dot2acc_f32_f16 v154, v17, v33
	v_dual_dot2acc_f32_f16 v155, v17, v32 :: v_dual_dot2acc_f32_f16 v150, v18, v33
	;; [unrolled: 1-line block ×6, first 2 shown]
	s_waitcnt lgkmcnt(1)
	v_dual_dot2acc_f32_f16 v111, v19, v35 :: v_dual_dot2acc_f32_f16 v156, v16, v25
	v_dual_dot2acc_f32_f16 v157, v16, v24 :: v_dual_dot2acc_f32_f16 v152, v17, v25
	;; [unrolled: 1-line block ×6, first 2 shown]
	v_dot2acc_f32_f16 v117, v18, v26
	v_dual_dot2acc_f32_f16 v116, v18, v27 :: v_dual_dot2acc_f32_f16 v145, v19, v24
	v_dot2acc_f32_f16 v114, v19, v26
	v_dot2acc_f32_f16 v115, v19, v27
	ds_load_b128 v[16:19], v160 offset:5120
	s_waitcnt lgkmcnt(1)
	v_dot2acc_f32_f16 v96, v20, v34
	v_dot2acc_f32_f16 v143, v20, v32
	;; [unrolled: 1-line block ×3, first 2 shown]
	v_dual_dot2acc_f32_f16 v97, v20, v35 :: v_dual_dot2acc_f32_f16 v138, v21, v33
	v_dual_dot2acc_f32_f16 v139, v21, v32 :: v_dual_dot2acc_f32_f16 v104, v22, v35
	;; [unrolled: 1-line block ×7, first 2 shown]
	ds_load_b128 v[28:31], v161 offset:21504
	v_dual_dot2acc_f32_f16 v113, v23, v35 :: v_dual_dot2acc_f32_f16 v140, v20, v25
	v_dual_dot2acc_f32_f16 v99, v20, v27 :: v_dual_dot2acc_f32_f16 v136, v21, v25
	;; [unrolled: 1-line block ×6, first 2 shown]
	ds_load_b128 v[32:35], v161 offset:21760
	v_dot2acc_f32_f16 v135, v23, v25
	v_dot2acc_f32_f16 v108, v23, v26
	;; [unrolled: 1-line block ×3, first 2 shown]
	ds_load_b128 v[20:23], v160 offset:5376
	ds_load_b128 v[24:27], v161 offset:22016
	v_cndmask_b32_e64 v8, 0, v91, s0
	s_waitcnt lgkmcnt(3)
	v_dot2acc_f32_f16 v159, v16, v28
	v_dot2acc_f32_f16 v158, v16, v29
	;; [unrolled: 1-line block ×3, first 2 shown]
	v_dual_dot2acc_f32_f16 v129, v16, v31 :: v_dual_dot2acc_f32_f16 v154, v17, v29
	v_dual_dot2acc_f32_f16 v155, v17, v28 :: v_dual_dot2acc_f32_f16 v150, v18, v29
	;; [unrolled: 1-line block ×6, first 2 shown]
	s_waitcnt lgkmcnt(2)
	v_dual_dot2acc_f32_f16 v111, v19, v31 :: v_dual_dot2acc_f32_f16 v156, v16, v33
	v_dual_dot2acc_f32_f16 v157, v16, v32 :: v_dual_dot2acc_f32_f16 v152, v17, v33
	;; [unrolled: 1-line block ×6, first 2 shown]
	v_dot2acc_f32_f16 v117, v18, v34
	v_dual_dot2acc_f32_f16 v116, v18, v35 :: v_dual_dot2acc_f32_f16 v145, v19, v32
	v_dot2acc_f32_f16 v114, v19, v34
	v_dot2acc_f32_f16 v115, v19, v35
	ds_load_b128 v[16:19], v160 offset:5632
	s_waitcnt lgkmcnt(2)
	v_dot2acc_f32_f16 v96, v20, v30
	v_dot2acc_f32_f16 v143, v20, v28
	;; [unrolled: 1-line block ×3, first 2 shown]
	v_dual_dot2acc_f32_f16 v97, v20, v31 :: v_dual_dot2acc_f32_f16 v138, v21, v29
	v_dual_dot2acc_f32_f16 v139, v21, v28 :: v_dual_dot2acc_f32_f16 v104, v22, v31
	;; [unrolled: 1-line block ×13, first 2 shown]
	ds_load_b128 v[28:31], v161 offset:22272
	s_waitcnt lgkmcnt(1)
	v_dual_dot2acc_f32_f16 v135, v23, v33 :: v_dual_dot2acc_f32_f16 v130, v16, v26
	v_dual_dot2acc_f32_f16 v108, v23, v34 :: v_dual_dot2acc_f32_f16 v159, v16, v24
	;; [unrolled: 1-line block ×3, first 2 shown]
	ds_load_b128 v[20:23], v160 offset:5888
	v_dual_dot2acc_f32_f16 v129, v16, v27 :: v_dual_dot2acc_f32_f16 v154, v17, v25
	v_dual_dot2acc_f32_f16 v155, v17, v24 :: v_dual_dot2acc_f32_f16 v150, v18, v25
	;; [unrolled: 1-line block ×6, first 2 shown]
	s_waitcnt lgkmcnt(1)
	v_dual_dot2acc_f32_f16 v111, v19, v27 :: v_dual_dot2acc_f32_f16 v156, v16, v29
	v_dual_dot2acc_f32_f16 v157, v16, v28 :: v_dual_dot2acc_f32_f16 v152, v17, v29
	;; [unrolled: 1-line block ×6, first 2 shown]
	v_dot2acc_f32_f16 v117, v18, v30
	v_dual_dot2acc_f32_f16 v116, v18, v31 :: v_dual_dot2acc_f32_f16 v145, v19, v28
	v_dot2acc_f32_f16 v114, v19, v30
	v_dot2acc_f32_f16 v115, v19, v31
	ds_load_b128 v[16:19], v160 offset:6144
	s_waitcnt lgkmcnt(1)
	v_dot2acc_f32_f16 v96, v20, v26
	v_dot2acc_f32_f16 v143, v20, v24
	;; [unrolled: 1-line block ×3, first 2 shown]
	v_dual_dot2acc_f32_f16 v97, v20, v27 :: v_dual_dot2acc_f32_f16 v138, v21, v25
	v_dual_dot2acc_f32_f16 v139, v21, v24 :: v_dual_dot2acc_f32_f16 v104, v22, v27
	;; [unrolled: 1-line block ×7, first 2 shown]
	ds_load_b128 v[32:35], v161 offset:22528
	v_dual_dot2acc_f32_f16 v113, v23, v27 :: v_dual_dot2acc_f32_f16 v140, v20, v29
	v_dual_dot2acc_f32_f16 v99, v20, v31 :: v_dual_dot2acc_f32_f16 v136, v21, v29
	;; [unrolled: 1-line block ×6, first 2 shown]
	ds_load_b128 v[24:27], v161 offset:22784
	v_dot2acc_f32_f16 v135, v23, v29
	v_dot2acc_f32_f16 v108, v23, v30
	;; [unrolled: 1-line block ×3, first 2 shown]
	ds_load_b128 v[20:23], v160 offset:6400
	ds_load_b128 v[28:31], v161 offset:23040
	v_cndmask_b32_e64 v9, 0, v90, s0
	s_waitcnt lgkmcnt(3)
	v_dot2acc_f32_f16 v159, v16, v32
	v_dot2acc_f32_f16 v158, v16, v33
	v_dot2acc_f32_f16 v130, v16, v34
	v_dual_dot2acc_f32_f16 v129, v16, v35 :: v_dual_dot2acc_f32_f16 v154, v17, v33
	v_dual_dot2acc_f32_f16 v155, v17, v32 :: v_dual_dot2acc_f32_f16 v150, v18, v33
	;; [unrolled: 1-line block ×6, first 2 shown]
	s_waitcnt lgkmcnt(2)
	v_dual_dot2acc_f32_f16 v111, v19, v35 :: v_dual_dot2acc_f32_f16 v156, v16, v25
	v_dual_dot2acc_f32_f16 v157, v16, v24 :: v_dual_dot2acc_f32_f16 v152, v17, v25
	v_dual_dot2acc_f32_f16 v125, v16, v26 :: v_dual_dot2acc_f32_f16 v148, v18, v25
	v_dual_dot2acc_f32_f16 v124, v16, v27 :: v_dual_dot2acc_f32_f16 v153, v17, v24
	v_dual_dot2acc_f32_f16 v122, v17, v26 :: v_dual_dot2acc_f32_f16 v149, v18, v24
	v_dual_dot2acc_f32_f16 v123, v17, v27 :: v_dual_dot2acc_f32_f16 v144, v19, v25
	v_dot2acc_f32_f16 v117, v18, v26
	v_dual_dot2acc_f32_f16 v116, v18, v27 :: v_dual_dot2acc_f32_f16 v145, v19, v24
	v_dot2acc_f32_f16 v114, v19, v26
	v_dot2acc_f32_f16 v115, v19, v27
	ds_load_b128 v[16:19], v160 offset:6656
	s_waitcnt lgkmcnt(2)
	v_dot2acc_f32_f16 v96, v20, v34
	v_dot2acc_f32_f16 v143, v20, v32
	;; [unrolled: 1-line block ×3, first 2 shown]
	v_dual_dot2acc_f32_f16 v97, v20, v35 :: v_dual_dot2acc_f32_f16 v138, v21, v33
	v_dual_dot2acc_f32_f16 v139, v21, v32 :: v_dual_dot2acc_f32_f16 v104, v22, v35
	;; [unrolled: 1-line block ×13, first 2 shown]
	ds_load_b128 v[32:35], v161 offset:23296
	s_waitcnt lgkmcnt(1)
	v_dual_dot2acc_f32_f16 v135, v23, v25 :: v_dual_dot2acc_f32_f16 v130, v16, v30
	v_dual_dot2acc_f32_f16 v108, v23, v26 :: v_dual_dot2acc_f32_f16 v159, v16, v28
	;; [unrolled: 1-line block ×3, first 2 shown]
	ds_load_b128 v[20:23], v160 offset:6912
	v_dual_dot2acc_f32_f16 v129, v16, v31 :: v_dual_dot2acc_f32_f16 v154, v17, v29
	v_dual_dot2acc_f32_f16 v155, v17, v28 :: v_dual_dot2acc_f32_f16 v150, v18, v29
	v_dual_dot2acc_f32_f16 v121, v17, v30 :: v_dual_dot2acc_f32_f16 v146, v19, v29
	v_dual_dot2acc_f32_f16 v120, v17, v31 :: v_dual_dot2acc_f32_f16 v151, v18, v28
	v_dual_dot2acc_f32_f16 v118, v18, v30 :: v_dual_dot2acc_f32_f16 v147, v19, v28
	v_dual_dot2acc_f32_f16 v119, v18, v31 :: v_dual_dot2acc_f32_f16 v112, v19, v30
	s_waitcnt lgkmcnt(1)
	v_dual_dot2acc_f32_f16 v111, v19, v31 :: v_dual_dot2acc_f32_f16 v156, v16, v33
	v_dual_dot2acc_f32_f16 v157, v16, v32 :: v_dual_dot2acc_f32_f16 v152, v17, v33
	v_dual_dot2acc_f32_f16 v125, v16, v34 :: v_dual_dot2acc_f32_f16 v148, v18, v33
	v_dual_dot2acc_f32_f16 v124, v16, v35 :: v_dual_dot2acc_f32_f16 v153, v17, v32
	v_dual_dot2acc_f32_f16 v122, v17, v34 :: v_dual_dot2acc_f32_f16 v149, v18, v32
	v_dual_dot2acc_f32_f16 v123, v17, v35 :: v_dual_dot2acc_f32_f16 v144, v19, v33
	v_dot2acc_f32_f16 v117, v18, v34
	v_dual_dot2acc_f32_f16 v116, v18, v35 :: v_dual_dot2acc_f32_f16 v145, v19, v32
	v_dot2acc_f32_f16 v114, v19, v34
	v_dot2acc_f32_f16 v115, v19, v35
	ds_load_b128 v[16:19], v160 offset:7168
	s_waitcnt lgkmcnt(1)
	v_dot2acc_f32_f16 v96, v20, v30
	v_dot2acc_f32_f16 v143, v20, v28
	;; [unrolled: 1-line block ×3, first 2 shown]
	v_dual_dot2acc_f32_f16 v97, v20, v31 :: v_dual_dot2acc_f32_f16 v138, v21, v29
	v_dual_dot2acc_f32_f16 v139, v21, v28 :: v_dual_dot2acc_f32_f16 v104, v22, v31
	;; [unrolled: 1-line block ×7, first 2 shown]
	ds_load_b128 v[24:27], v161 offset:23552
	v_dual_dot2acc_f32_f16 v113, v23, v31 :: v_dual_dot2acc_f32_f16 v140, v20, v33
	v_dual_dot2acc_f32_f16 v99, v20, v35 :: v_dual_dot2acc_f32_f16 v136, v21, v33
	;; [unrolled: 1-line block ×6, first 2 shown]
	ds_load_b128 v[28:31], v161 offset:23808
	v_dot2acc_f32_f16 v135, v23, v33
	v_dot2acc_f32_f16 v108, v23, v34
	;; [unrolled: 1-line block ×3, first 2 shown]
	ds_load_b128 v[20:23], v160 offset:7424
	ds_load_b128 v[32:35], v161 offset:24064
	v_cndmask_b32_e32 v13, 0, v94, vcc_lo
	s_waitcnt lgkmcnt(3)
	v_dot2acc_f32_f16 v159, v16, v24
	v_dot2acc_f32_f16 v158, v16, v25
	;; [unrolled: 1-line block ×3, first 2 shown]
	v_dual_dot2acc_f32_f16 v129, v16, v27 :: v_dual_dot2acc_f32_f16 v154, v17, v25
	v_dual_dot2acc_f32_f16 v155, v17, v24 :: v_dual_dot2acc_f32_f16 v150, v18, v25
	;; [unrolled: 1-line block ×6, first 2 shown]
	s_waitcnt lgkmcnt(2)
	v_dual_dot2acc_f32_f16 v111, v19, v27 :: v_dual_dot2acc_f32_f16 v156, v16, v29
	v_dual_dot2acc_f32_f16 v157, v16, v28 :: v_dual_dot2acc_f32_f16 v152, v17, v29
	;; [unrolled: 1-line block ×6, first 2 shown]
	v_dot2acc_f32_f16 v117, v18, v30
	v_dual_dot2acc_f32_f16 v116, v18, v31 :: v_dual_dot2acc_f32_f16 v145, v19, v28
	v_dot2acc_f32_f16 v114, v19, v30
	v_dot2acc_f32_f16 v115, v19, v31
	ds_load_b128 v[16:19], v160 offset:7680
	s_waitcnt lgkmcnt(2)
	v_dot2acc_f32_f16 v96, v20, v26
	v_dot2acc_f32_f16 v143, v20, v24
	;; [unrolled: 1-line block ×3, first 2 shown]
	v_dual_dot2acc_f32_f16 v97, v20, v27 :: v_dual_dot2acc_f32_f16 v138, v21, v25
	v_dual_dot2acc_f32_f16 v139, v21, v24 :: v_dual_dot2acc_f32_f16 v104, v22, v27
	;; [unrolled: 1-line block ×13, first 2 shown]
	v_dot2acc_f32_f16 v135, v23, v29
	ds_load_b128 v[24:27], v161 offset:24320
	v_dot2acc_f32_f16 v108, v23, v30
	v_dot2acc_f32_f16 v109, v23, v31
	ds_load_b128 v[20:23], v160 offset:7936
	s_waitcnt lgkmcnt(2)
	v_dot2acc_f32_f16 v158, v16, v33
	v_cndmask_b32_e32 v15, 0, v93, vcc_lo
	v_cndmask_b32_e64 v6, 0, v80, s1
	v_cndmask_b32_e32 v10, 0, v95, vcc_lo
	v_cndmask_b32_e64 v0, 0, v83, s1
	v_cndmask_b32_e64 v2, 0, v82, s1
	;; [unrolled: 1-line block ×7, first 2 shown]
	ds_store_2addr_stride64_b32 v164, v14, v12 offset0:32 offset1:34
	ds_store_2addr_stride64_b32 v164, v9, v8 offset0:36 offset1:38
	;; [unrolled: 1-line block ×5, first 2 shown]
	ds_store_b32 v165, v11 offset:2048
	ds_store_b32 v166, v7 offset:2048
	ds_store_2addr_stride64_b32 v164, v0, v5 offset0:102 offset1:106
	ds_store_2addr_stride64_b32 v164, v3, v1 offset0:108 offset1:110
	s_waitcnt lgkmcnt(0)
	s_barrier
	ds_load_b128 v[0:3], v160 offset:8192
	ds_load_b128 v[4:7], v161 offset:24576
	ds_load_b128 v[8:11], v161 offset:24832
	ds_load_b128 v[12:15], v160 offset:8448
	v_dot2acc_f32_f16 v159, v16, v32
	v_dot2acc_f32_f16 v130, v16, v34
	v_dual_dot2acc_f32_f16 v129, v16, v35 :: v_dual_dot2acc_f32_f16 v154, v17, v33
	v_dual_dot2acc_f32_f16 v155, v17, v32 :: v_dual_dot2acc_f32_f16 v150, v18, v33
	;; [unrolled: 1-line block ×29, first 2 shown]
	s_waitcnt lgkmcnt(2)
	v_dual_dot2acc_f32_f16 v135, v23, v25 :: v_dual_dot2acc_f32_f16 v130, v0, v6
	v_dual_dot2acc_f32_f16 v108, v23, v26 :: v_dual_dot2acc_f32_f16 v159, v0, v4
	;; [unrolled: 1-line block ×9, first 2 shown]
	ds_load_b128 v[16:19], v161 offset:25088
	s_waitcnt lgkmcnt(2)
	v_dual_dot2acc_f32_f16 v111, v3, v7 :: v_dual_dot2acc_f32_f16 v156, v0, v9
	v_dual_dot2acc_f32_f16 v157, v0, v8 :: v_dual_dot2acc_f32_f16 v152, v1, v9
	v_dual_dot2acc_f32_f16 v125, v0, v10 :: v_dual_dot2acc_f32_f16 v148, v2, v9
	v_dual_dot2acc_f32_f16 v124, v0, v11 :: v_dual_dot2acc_f32_f16 v153, v1, v8
	v_dual_dot2acc_f32_f16 v122, v1, v10 :: v_dual_dot2acc_f32_f16 v149, v2, v8
	v_dual_dot2acc_f32_f16 v123, v1, v11 :: v_dual_dot2acc_f32_f16 v144, v3, v9
	v_dot2acc_f32_f16 v117, v2, v10
	v_dual_dot2acc_f32_f16 v116, v2, v11 :: v_dual_dot2acc_f32_f16 v145, v3, v8
	v_dot2acc_f32_f16 v114, v3, v10
	v_dot2acc_f32_f16 v115, v3, v11
	ds_load_b128 v[0:3], v160 offset:8704
	s_waitcnt lgkmcnt(2)
	v_dot2acc_f32_f16 v96, v12, v6
	v_dot2acc_f32_f16 v143, v12, v4
	v_dot2acc_f32_f16 v142, v12, v5
	v_dual_dot2acc_f32_f16 v97, v12, v7 :: v_dual_dot2acc_f32_f16 v138, v13, v5
	v_dual_dot2acc_f32_f16 v139, v13, v4 :: v_dual_dot2acc_f32_f16 v104, v14, v7
	v_dual_dot2acc_f32_f16 v103, v13, v6 :: v_dual_dot2acc_f32_f16 v132, v14, v4
	v_dual_dot2acc_f32_f16 v102, v13, v7 :: v_dual_dot2acc_f32_f16 v131, v14, v5
	v_dual_dot2acc_f32_f16 v105, v14, v6 :: v_dual_dot2acc_f32_f16 v126, v15, v4
	v_dual_dot2acc_f32_f16 v133, v15, v5 :: v_dual_dot2acc_f32_f16 v98, v12, v10
	v_dual_dot2acc_f32_f16 v110, v15, v6 :: v_dual_dot2acc_f32_f16 v141, v12, v8
	v_dual_dot2acc_f32_f16 v113, v15, v7 :: v_dual_dot2acc_f32_f16 v140, v12, v9
	v_dual_dot2acc_f32_f16 v99, v12, v11 :: v_dual_dot2acc_f32_f16 v136, v13, v9
	v_dual_dot2acc_f32_f16 v137, v13, v8 :: v_dual_dot2acc_f32_f16 v106, v14, v11
	v_dual_dot2acc_f32_f16 v101, v13, v10 :: v_dual_dot2acc_f32_f16 v128, v14, v8
	v_dual_dot2acc_f32_f16 v100, v13, v11 :: v_dual_dot2acc_f32_f16 v127, v14, v9
	v_dual_dot2acc_f32_f16 v107, v14, v10 :: v_dual_dot2acc_f32_f16 v134, v15, v8
	s_waitcnt lgkmcnt(0)
	v_dual_dot2acc_f32_f16 v135, v15, v9 :: v_dual_dot2acc_f32_f16 v130, v0, v18
	ds_load_b128 v[4:7], v161 offset:25344
	v_dual_dot2acc_f32_f16 v108, v15, v10 :: v_dual_dot2acc_f32_f16 v159, v0, v16
	v_dual_dot2acc_f32_f16 v109, v15, v11 :: v_dual_dot2acc_f32_f16 v158, v0, v17
	ds_load_b128 v[8:11], v160 offset:8960
	v_dual_dot2acc_f32_f16 v129, v0, v19 :: v_dual_dot2acc_f32_f16 v154, v1, v17
	v_dual_dot2acc_f32_f16 v155, v1, v16 :: v_dual_dot2acc_f32_f16 v150, v2, v17
	v_dual_dot2acc_f32_f16 v121, v1, v18 :: v_dual_dot2acc_f32_f16 v146, v3, v17
	v_dual_dot2acc_f32_f16 v120, v1, v19 :: v_dual_dot2acc_f32_f16 v151, v2, v16
	v_dual_dot2acc_f32_f16 v118, v2, v18 :: v_dual_dot2acc_f32_f16 v147, v3, v16
	v_dual_dot2acc_f32_f16 v119, v2, v19 :: v_dual_dot2acc_f32_f16 v112, v3, v18
	ds_load_b128 v[12:15], v161 offset:25600
	s_waitcnt lgkmcnt(2)
	v_dual_dot2acc_f32_f16 v111, v3, v19 :: v_dual_dot2acc_f32_f16 v156, v0, v5
	v_dual_dot2acc_f32_f16 v157, v0, v4 :: v_dual_dot2acc_f32_f16 v152, v1, v5
	v_dual_dot2acc_f32_f16 v125, v0, v6 :: v_dual_dot2acc_f32_f16 v148, v2, v5
	v_dual_dot2acc_f32_f16 v124, v0, v7 :: v_dual_dot2acc_f32_f16 v153, v1, v4
	v_dual_dot2acc_f32_f16 v122, v1, v6 :: v_dual_dot2acc_f32_f16 v149, v2, v4
	v_dual_dot2acc_f32_f16 v123, v1, v7 :: v_dual_dot2acc_f32_f16 v144, v3, v5
	v_dot2acc_f32_f16 v117, v2, v6
	v_dual_dot2acc_f32_f16 v116, v2, v7 :: v_dual_dot2acc_f32_f16 v145, v3, v4
	v_dot2acc_f32_f16 v114, v3, v6
	v_dot2acc_f32_f16 v115, v3, v7
	ds_load_b128 v[0:3], v160 offset:9216
	s_waitcnt lgkmcnt(2)
	v_dot2acc_f32_f16 v96, v8, v18
	v_dot2acc_f32_f16 v143, v8, v16
	v_dot2acc_f32_f16 v142, v8, v17
	v_dual_dot2acc_f32_f16 v97, v8, v19 :: v_dual_dot2acc_f32_f16 v138, v9, v17
	v_dual_dot2acc_f32_f16 v139, v9, v16 :: v_dual_dot2acc_f32_f16 v104, v10, v19
	v_dual_dot2acc_f32_f16 v103, v9, v18 :: v_dual_dot2acc_f32_f16 v132, v10, v16
	v_dual_dot2acc_f32_f16 v102, v9, v19 :: v_dual_dot2acc_f32_f16 v131, v10, v17
	v_dual_dot2acc_f32_f16 v105, v10, v18 :: v_dual_dot2acc_f32_f16 v126, v11, v16
	v_dual_dot2acc_f32_f16 v133, v11, v17 :: v_dual_dot2acc_f32_f16 v98, v8, v6
	v_dual_dot2acc_f32_f16 v110, v11, v18 :: v_dual_dot2acc_f32_f16 v141, v8, v4
	v_dual_dot2acc_f32_f16 v113, v11, v19 :: v_dual_dot2acc_f32_f16 v140, v8, v5
	v_dual_dot2acc_f32_f16 v99, v8, v7 :: v_dual_dot2acc_f32_f16 v136, v9, v5
	v_dual_dot2acc_f32_f16 v137, v9, v4 :: v_dual_dot2acc_f32_f16 v106, v10, v7
	v_dual_dot2acc_f32_f16 v101, v9, v6 :: v_dual_dot2acc_f32_f16 v128, v10, v4
	v_dual_dot2acc_f32_f16 v100, v9, v7 :: v_dual_dot2acc_f32_f16 v127, v10, v5
	v_dual_dot2acc_f32_f16 v107, v10, v6 :: v_dual_dot2acc_f32_f16 v134, v11, v4
	s_waitcnt lgkmcnt(0)
	v_dual_dot2acc_f32_f16 v135, v11, v5 :: v_dual_dot2acc_f32_f16 v130, v0, v14
	ds_load_b128 v[16:19], v161 offset:25856
	v_dual_dot2acc_f32_f16 v108, v11, v6 :: v_dual_dot2acc_f32_f16 v159, v0, v12
	v_dual_dot2acc_f32_f16 v109, v11, v7 :: v_dual_dot2acc_f32_f16 v158, v0, v13
	ds_load_b128 v[4:7], v160 offset:9472
	v_dual_dot2acc_f32_f16 v129, v0, v15 :: v_dual_dot2acc_f32_f16 v154, v1, v13
	v_dual_dot2acc_f32_f16 v155, v1, v12 :: v_dual_dot2acc_f32_f16 v150, v2, v13
	v_dual_dot2acc_f32_f16 v121, v1, v14 :: v_dual_dot2acc_f32_f16 v146, v3, v13
	v_dual_dot2acc_f32_f16 v120, v1, v15 :: v_dual_dot2acc_f32_f16 v151, v2, v12
	v_dual_dot2acc_f32_f16 v118, v2, v14 :: v_dual_dot2acc_f32_f16 v147, v3, v12
	v_dual_dot2acc_f32_f16 v119, v2, v15 :: v_dual_dot2acc_f32_f16 v112, v3, v14
	;; [unrolled: 42-line block ×9, first 2 shown]
	ds_load_b128 v[16:19], v161 offset:29696
	s_waitcnt lgkmcnt(2)
	v_dual_dot2acc_f32_f16 v111, v3, v11 :: v_dual_dot2acc_f32_f16 v156, v0, v13
	v_dual_dot2acc_f32_f16 v157, v0, v12 :: v_dual_dot2acc_f32_f16 v152, v1, v13
	;; [unrolled: 1-line block ×6, first 2 shown]
	v_dot2acc_f32_f16 v117, v2, v14
	v_dual_dot2acc_f32_f16 v116, v2, v15 :: v_dual_dot2acc_f32_f16 v145, v3, v12
	v_dot2acc_f32_f16 v114, v3, v14
	v_dot2acc_f32_f16 v115, v3, v15
	ds_load_b128 v[0:3], v160 offset:13312
	s_waitcnt lgkmcnt(2)
	v_dot2acc_f32_f16 v96, v4, v10
	v_dot2acc_f32_f16 v143, v4, v8
	;; [unrolled: 1-line block ×3, first 2 shown]
	v_dual_dot2acc_f32_f16 v97, v4, v11 :: v_dual_dot2acc_f32_f16 v138, v5, v9
	v_dual_dot2acc_f32_f16 v139, v5, v8 :: v_dual_dot2acc_f32_f16 v104, v6, v11
	;; [unrolled: 1-line block ×8, first 2 shown]
	ds_load_b128 v[8:11], v161 offset:29952
	ds_load_b128 v[20:23], v160 offset:13568
	v_dual_dot2acc_f32_f16 v99, v4, v15 :: v_dual_dot2acc_f32_f16 v136, v5, v13
	v_dual_dot2acc_f32_f16 v137, v5, v12 :: v_dual_dot2acc_f32_f16 v106, v6, v15
	;; [unrolled: 1-line block ×5, first 2 shown]
	s_waitcnt lgkmcnt(2)
	v_dual_dot2acc_f32_f16 v135, v7, v13 :: v_dual_dot2acc_f32_f16 v130, v0, v18
	v_dual_dot2acc_f32_f16 v108, v7, v14 :: v_dual_dot2acc_f32_f16 v159, v0, v16
	;; [unrolled: 1-line block ×9, first 2 shown]
	ds_load_b128 v[12:15], v161 offset:30208
	s_waitcnt lgkmcnt(2)
	v_dual_dot2acc_f32_f16 v111, v3, v19 :: v_dual_dot2acc_f32_f16 v156, v0, v9
	v_dual_dot2acc_f32_f16 v157, v0, v8 :: v_dual_dot2acc_f32_f16 v152, v1, v9
	;; [unrolled: 1-line block ×6, first 2 shown]
	v_dot2acc_f32_f16 v117, v2, v10
	v_dual_dot2acc_f32_f16 v116, v2, v11 :: v_dual_dot2acc_f32_f16 v145, v3, v8
	v_dot2acc_f32_f16 v114, v3, v10
	v_dot2acc_f32_f16 v115, v3, v11
	ds_load_b128 v[0:3], v160 offset:13824
	s_waitcnt lgkmcnt(2)
	v_dot2acc_f32_f16 v96, v20, v18
	v_dot2acc_f32_f16 v143, v20, v16
	v_dual_dot2acc_f32_f16 v139, v21, v16 :: v_dual_dot2acc_f32_f16 v104, v22, v19
	v_dual_dot2acc_f32_f16 v103, v21, v18 :: v_dual_dot2acc_f32_f16 v132, v22, v16
	;; [unrolled: 1-line block ×3, first 2 shown]
	v_lshl_add_u32 v16, s51, 7, v163
	v_dual_dot2acc_f32_f16 v133, v23, v17 :: v_dual_dot2acc_f32_f16 v98, v20, v10
	v_dual_dot2acc_f32_f16 v110, v23, v18 :: v_dual_dot2acc_f32_f16 v141, v20, v8
	;; [unrolled: 1-line block ×8, first 2 shown]
	s_waitcnt lgkmcnt(0)
	v_dual_dot2acc_f32_f16 v135, v23, v9 :: v_dual_dot2acc_f32_f16 v130, v0, v14
	ds_load_b128 v[4:7], v161 offset:30464
	v_dual_dot2acc_f32_f16 v108, v23, v10 :: v_dual_dot2acc_f32_f16 v159, v0, v12
	v_dual_dot2acc_f32_f16 v109, v23, v11 :: v_dual_dot2acc_f32_f16 v158, v0, v13
	ds_load_b128 v[8:11], v160 offset:14080
	v_mul_lo_u32 v18, v16, s58
	v_dot2acc_f32_f16 v142, v20, v17
	v_dual_dot2acc_f32_f16 v97, v20, v19 :: v_dual_dot2acc_f32_f16 v138, v21, v17
	v_dual_dot2acc_f32_f16 v102, v21, v19 :: v_dual_dot2acc_f32_f16 v131, v22, v17
	v_lshl_add_u32 v17, s56, 7, v162
	v_dual_dot2acc_f32_f16 v129, v0, v15 :: v_dual_dot2acc_f32_f16 v154, v1, v13
	v_dual_dot2acc_f32_f16 v155, v1, v12 :: v_dual_dot2acc_f32_f16 v150, v2, v13
	s_delay_alu instid0(VALU_DEP_3)
	v_mad_u64_u32 v[19:20], null, v17, s59, v[18:19]
	v_dual_dot2acc_f32_f16 v121, v1, v14 :: v_dual_dot2acc_f32_f16 v146, v3, v13
	v_dual_dot2acc_f32_f16 v120, v1, v15 :: v_dual_dot2acc_f32_f16 v151, v2, v12
	;; [unrolled: 1-line block ×4, first 2 shown]
	s_waitcnt lgkmcnt(1)
	v_dual_dot2acc_f32_f16 v111, v3, v15 :: v_dual_dot2acc_f32_f16 v156, v0, v5
	v_dual_dot2acc_f32_f16 v157, v0, v4 :: v_dual_dot2acc_f32_f16 v152, v1, v5
	;; [unrolled: 1-line block ×6, first 2 shown]
	v_dot2acc_f32_f16 v117, v2, v6
	v_dual_dot2acc_f32_f16 v116, v2, v7 :: v_dual_dot2acc_f32_f16 v145, v3, v4
	v_dot2acc_f32_f16 v114, v3, v6
	v_dot2acc_f32_f16 v115, v3, v7
	ds_load_b128 v[0:3], v160 offset:14336
	s_waitcnt lgkmcnt(1)
	v_dot2acc_f32_f16 v96, v8, v14
	v_dot2acc_f32_f16 v143, v8, v12
	;; [unrolled: 1-line block ×3, first 2 shown]
	v_dual_dot2acc_f32_f16 v97, v8, v15 :: v_dual_dot2acc_f32_f16 v138, v9, v13
	v_dual_dot2acc_f32_f16 v133, v11, v13 :: v_dual_dot2acc_f32_f16 v98, v8, v6
	;; [unrolled: 1-line block ×5, first 2 shown]
	v_dual_dot2acc_f32_f16 v137, v9, v4 :: v_dual_lshlrev_b32 v8, 1, v19
	v_dual_dot2acc_f32_f16 v139, v9, v12 :: v_dual_dot2acc_f32_f16 v104, v10, v15
	v_dual_dot2acc_f32_f16 v103, v9, v14 :: v_dual_dot2acc_f32_f16 v132, v10, v12
	;; [unrolled: 1-line block ×4, first 2 shown]
	ds_load_b128 v[12:15], v161 offset:30720
	s_lshl_b32 s14, s54, 1
	s_mov_b32 s15, 0x31004000
	s_lshl_b32 s0, s59, 6
	buffer_load_b64 v[22:23], v8, s[12:15], 0 offen
	v_add_lshl_u32 v8, v19, s0, 1
	v_dual_dot2acc_f32_f16 v101, v9, v6 :: v_dual_add_nc_u32 v18, s58, v19
	v_dot2acc_f32_f16 v128, v10, v4
	v_dual_dot2acc_f32_f16 v100, v9, v7 :: v_dual_dot2acc_f32_f16 v127, v10, v5
	buffer_load_b64 v[24:25], v8, s[12:15], 0 offen
	v_dual_dot2acc_f32_f16 v107, v10, v6 :: v_dual_dot2acc_f32_f16 v134, v11, v4
	v_dual_dot2acc_f32_f16 v106, v10, v7 :: v_dual_dot2acc_f32_f16 v135, v11, v5
	v_dot2acc_f32_f16 v108, v11, v6
	v_dot2acc_f32_f16 v109, v11, v7
	ds_load_b128 v[4:7], v161 offset:30976
	ds_load_b128 v[8:11], v160 offset:14592
	v_cmp_gt_i32_e32 vcc_lo, s33, v17
	s_waitcnt lgkmcnt(2)
	v_dot2acc_f32_f16 v158, v0, v13
	v_dot2acc_f32_f16 v159, v0, v12
	v_dual_dot2acc_f32_f16 v154, v1, v13 :: v_dual_lshlrev_b32 v19, 1, v18
	v_dual_dot2acc_f32_f16 v119, v2, v15 :: v_dual_dot2acc_f32_f16 v130, v0, v14
	v_dot2acc_f32_f16 v155, v1, v12
	buffer_load_b64 v[26:27], v19, s[12:15], 0 offen
	v_add_lshl_u32 v19, v18, s0, 1
	v_dual_dot2acc_f32_f16 v129, v0, v15 :: v_dual_add_nc_u32 v18, s58, v18
	v_dot2acc_f32_f16 v146, v3, v13
	v_dot2acc_f32_f16 v111, v3, v15
	buffer_load_b64 v[28:29], v19, s[12:15], 0 offen
	v_lshlrev_b32_e32 v19, 1, v18
	v_dual_dot2acc_f32_f16 v121, v1, v14 :: v_dual_dot2acc_f32_f16 v150, v2, v13
	s_waitcnt lgkmcnt(1)
	v_dot2acc_f32_f16 v124, v0, v7
	v_dot2acc_f32_f16 v157, v0, v4
	buffer_load_b64 v[30:31], v19, s[12:15], 0 offen
	v_dot2acc_f32_f16 v156, v0, v5
	v_dual_dot2acc_f32_f16 v125, v0, v6 :: v_dual_dot2acc_f32_f16 v152, v1, v5
	v_add_lshl_u32 v0, v18, s0, 1
	v_dual_dot2acc_f32_f16 v115, v3, v7 :: v_dual_add_nc_u32 v18, s58, v18
	s_waitcnt lgkmcnt(0)
	v_dot2acc_f32_f16 v142, v8, v13
	v_dual_dot2acc_f32_f16 v114, v3, v6 :: v_dual_dot2acc_f32_f16 v143, v8, v12
	buffer_load_b64 v[32:33], v0, s[12:15], 0 offen
	v_lshlrev_b32_e32 v19, 1, v18
	v_dual_dot2acc_f32_f16 v96, v8, v14 :: v_dual_dot2acc_f32_f16 v139, v9, v12
	v_dual_dot2acc_f32_f16 v97, v8, v15 :: v_dual_dot2acc_f32_f16 v138, v9, v13
	buffer_load_b64 v[34:35], v19, s[12:15], 0 offen
	v_add_lshl_u32 v19, v18, s0, 1
	v_dual_dot2acc_f32_f16 v110, v11, v14 :: v_dual_dot2acc_f32_f16 v141, v8, v4
	v_dual_dot2acc_f32_f16 v113, v11, v15 :: v_dual_dot2acc_f32_f16 v140, v8, v5
	buffer_load_b64 v[36:37], v19, s[12:15], 0 offen
	v_mad_u64_u32 v[19:20], null, s58, 61, v[18:19]
	v_dual_dot2acc_f32_f16 v98, v8, v6 :: v_dual_dot2acc_f32_f16 v127, v10, v5
	v_dual_dot2acc_f32_f16 v99, v8, v7 :: v_dual_dot2acc_f32_f16 v136, v9, v5
	v_dot2acc_f32_f16 v137, v9, v4
	v_dual_dot2acc_f32_f16 v120, v1, v15 :: v_dual_dot2acc_f32_f16 v151, v2, v12
	v_lshlrev_b32_e32 v18, 1, v19
	v_add_lshl_u32 v8, v19, s0, 1
	v_dual_dot2acc_f32_f16 v118, v2, v14 :: v_dual_dot2acc_f32_f16 v147, v3, v12
	v_dual_dot2acc_f32_f16 v112, v3, v14 :: v_dual_dot2acc_f32_f16 v153, v1, v4
	s_clause 0x1
	buffer_load_b64 v[38:39], v18, s[12:15], 0 offen
	buffer_load_b64 v[40:41], v8, s[12:15], 0 offen
	v_dual_dot2acc_f32_f16 v122, v1, v6 :: v_dual_dot2acc_f32_f16 v149, v2, v4
	v_dual_dot2acc_f32_f16 v123, v1, v7 :: v_dual_dot2acc_f32_f16 v148, v2, v5
	v_dual_dot2acc_f32_f16 v117, v2, v6 :: v_dual_dot2acc_f32_f16 v144, v3, v5
	v_dual_dot2acc_f32_f16 v116, v2, v7 :: v_dual_dot2acc_f32_f16 v145, v3, v4
	ds_load_b128 v[0:3], v160 offset:14848
	v_dual_dot2acc_f32_f16 v103, v9, v14 :: v_dual_dot2acc_f32_f16 v132, v10, v12
	v_dual_dot2acc_f32_f16 v102, v9, v15 :: v_dual_dot2acc_f32_f16 v131, v10, v13
	;; [unrolled: 1-line block ×4, first 2 shown]
	ds_load_b128 v[12:15], v161 offset:31232
	v_dual_dot2acc_f32_f16 v101, v9, v6 :: v_dual_add_nc_u32 v18, s58, v19
	v_dot2acc_f32_f16 v128, v10, v4
	v_dual_dot2acc_f32_f16 v100, v9, v7 :: v_dual_dot2acc_f32_f16 v107, v10, v6
	v_dual_dot2acc_f32_f16 v106, v10, v7 :: v_dual_dot2acc_f32_f16 v135, v11, v5
	v_dot2acc_f32_f16 v134, v11, v4
	v_dot2acc_f32_f16 v108, v11, v6
	;; [unrolled: 1-line block ×3, first 2 shown]
	ds_load_b128 v[4:7], v161 offset:31488
	ds_load_b128 v[8:11], v160 offset:15104
	s_lshl_b32 s42, s52, 1
	s_mov_b32 s43, s15
	s_add_i32 s4, s35, s34
	s_waitcnt lgkmcnt(2)
	v_dot2acc_f32_f16 v158, v0, v13
	v_dot2acc_f32_f16 v159, v0, v12
	v_lshlrev_b32_e32 v19, 1, v18
	v_dual_dot2acc_f32_f16 v119, v2, v15 :: v_dual_dot2acc_f32_f16 v146, v3, v13
	v_dual_dot2acc_f32_f16 v130, v0, v14 :: v_dual_dot2acc_f32_f16 v155, v1, v12
	buffer_load_b64 v[42:43], v19, s[12:15], 0 offen
	v_add_lshl_u32 v19, v18, s0, 1
	v_dual_dot2acc_f32_f16 v129, v0, v15 :: v_dual_add_nc_u32 v18, s58, v18
	s_waitcnt lgkmcnt(1)
	v_dual_dot2acc_f32_f16 v112, v3, v14 :: v_dual_dot2acc_f32_f16 v157, v0, v4
	buffer_load_b64 v[44:45], v19, s[12:15], 0 offen
	v_dual_dot2acc_f32_f16 v156, v0, v5 :: v_dual_lshlrev_b32 v19, 1, v18
	v_dot2acc_f32_f16 v153, v1, v4
	v_dual_dot2acc_f32_f16 v125, v0, v6 :: v_dual_dot2acc_f32_f16 v152, v1, v5
	buffer_load_b64 v[46:47], v19, s[12:15], 0 offen
	v_dual_dot2acc_f32_f16 v124, v0, v7 :: v_dual_dot2acc_f32_f16 v149, v2, v4
	v_add_lshl_u32 v0, v18, s0, 1
	v_dual_dot2acc_f32_f16 v115, v3, v7 :: v_dual_add_nc_u32 v18, s58, v18
	s_waitcnt lgkmcnt(0)
	v_dot2acc_f32_f16 v142, v8, v13
	v_dual_dot2acc_f32_f16 v154, v1, v13 :: v_dual_dot2acc_f32_f16 v151, v2, v12
	buffer_load_b64 v[48:49], v0, s[12:15], 0 offen
	v_lshlrev_b32_e32 v19, 1, v18
	v_add_lshl_u32 v18, v18, s0, 1
	v_dual_dot2acc_f32_f16 v121, v1, v14 :: v_dual_dot2acc_f32_f16 v150, v2, v13
	v_dual_dot2acc_f32_f16 v120, v1, v15 :: v_dual_dot2acc_f32_f16 v147, v3, v12
	s_clause 0x1
	buffer_load_b64 v[50:51], v19, s[12:15], 0 offen
	buffer_load_b64 v[52:53], v18, s[12:15], 0 offen
	v_dual_dot2acc_f32_f16 v118, v2, v14 :: v_dual_dot2acc_f32_f16 v111, v3, v15
	v_dual_dot2acc_f32_f16 v122, v1, v6 :: v_dual_dot2acc_f32_f16 v145, v3, v4
	;; [unrolled: 1-line block ×6, first 2 shown]
	ds_load_b128 v[0:3], v160 offset:15360
	v_dual_dot2acc_f32_f16 v96, v8, v14 :: v_dual_dot2acc_f32_f16 v139, v9, v12
	v_dual_dot2acc_f32_f16 v138, v9, v13 :: v_dual_dot2acc_f32_f16 v105, v10, v14
	;; [unrolled: 1-line block ×7, first 2 shown]
	ds_load_b128 v[18:21], v161 offset:31744
	v_dual_dot2acc_f32_f16 v113, v11, v15 :: v_dual_dot2acc_f32_f16 v140, v8, v5
	v_dual_dot2acc_f32_f16 v98, v8, v6 :: v_dual_dot2acc_f32_f16 v137, v9, v4
	;; [unrolled: 1-line block ×6, first 2 shown]
	ds_load_b128 v[12:15], v161 offset:32000
	v_dot2acc_f32_f16 v134, v11, v4
	v_dot2acc_f32_f16 v108, v11, v6
	v_dot2acc_f32_f16 v109, v11, v7
	ds_load_b128 v[4:7], v160 offset:15616
	ds_load_b128 v[8:11], v161 offset:32256
	v_cmp_gt_i32_e64 s0, s31, v16
	s_waitcnt lgkmcnt(3)
	v_dot2acc_f32_f16 v159, v0, v18
	v_dual_dot2acc_f32_f16 v158, v0, v19 :: v_dual_dot2acc_f32_f16 v155, v1, v18
	v_dot2acc_f32_f16 v130, v0, v20
	v_dual_dot2acc_f32_f16 v129, v0, v21 :: v_dual_dot2acc_f32_f16 v154, v1, v19
	;; [unrolled: 2-line block ×3, first 2 shown]
	v_dual_dot2acc_f32_f16 v120, v1, v21 :: v_dual_dot2acc_f32_f16 v147, v3, v18
	v_dual_dot2acc_f32_f16 v118, v2, v20 :: v_dual_dot2acc_f32_f16 v111, v3, v21
	;; [unrolled: 1-line block ×3, first 2 shown]
	s_waitcnt lgkmcnt(2)
	v_dual_dot2acc_f32_f16 v112, v3, v20 :: v_dual_dot2acc_f32_f16 v125, v0, v14
	v_dual_dot2acc_f32_f16 v157, v0, v12 :: v_dual_dot2acc_f32_f16 v152, v1, v13
	;; [unrolled: 1-line block ×7, first 2 shown]
	s_waitcnt lgkmcnt(1)
	v_dual_dot2acc_f32_f16 v116, v2, v15 :: v_dual_dot2acc_f32_f16 v143, v4, v18
	v_dual_dot2acc_f32_f16 v114, v3, v14 :: v_dual_dot2acc_f32_f16 v97, v4, v21
	v_dual_dot2acc_f32_f16 v115, v3, v15 :: v_dual_dot2acc_f32_f16 v96, v4, v20
	ds_load_b128 v[0:3], v160 offset:15872
	v_dual_dot2acc_f32_f16 v142, v4, v19 :: v_dual_dot2acc_f32_f16 v139, v5, v18
	v_dual_dot2acc_f32_f16 v138, v5, v19 :: v_dual_dot2acc_f32_f16 v105, v6, v20
	;; [unrolled: 1-line block ×13, first 2 shown]
	ds_load_b128 v[18:21], v161 offset:32512
	v_dot2acc_f32_f16 v134, v7, v12
	v_dot2acc_f32_f16 v108, v7, v14
	;; [unrolled: 1-line block ×3, first 2 shown]
	ds_load_b128 v[4:7], v160 offset:16128
	s_waitcnt lgkmcnt(2)
	v_dot2acc_f32_f16 v158, v0, v9
	v_add_nc_u32_e32 v54, 64, v17
	s_and_b32 s1, s0, vcc_lo
	v_dual_dot2acc_f32_f16 v154, v1, v9 :: v_dual_dot2acc_f32_f16 v151, v2, v8
	v_dual_dot2acc_f32_f16 v121, v1, v10 :: v_dual_dot2acc_f32_f16 v150, v2, v9
	;; [unrolled: 1-line block ×4, first 2 shown]
	v_dot2acc_f32_f16 v159, v0, v8
	v_dual_dot2acc_f32_f16 v130, v0, v10 :: v_dual_dot2acc_f32_f16 v155, v1, v8
	v_dot2acc_f32_f16 v129, v0, v11
	s_waitcnt lgkmcnt(1)
	v_dual_dot2acc_f32_f16 v124, v0, v21 :: v_dual_dot2acc_f32_f16 v149, v2, v18
	v_dual_dot2acc_f32_f16 v123, v1, v21 :: v_dual_dot2acc_f32_f16 v148, v2, v19
	s_waitcnt lgkmcnt(0)
	v_dot2acc_f32_f16 v135, v7, v19
	v_cmp_gt_i32_e64 s2, s33, v54
	v_dual_dot2acc_f32_f16 v117, v2, v20 :: v_dual_dot2acc_f32_f16 v144, v3, v19
	v_dual_dot2acc_f32_f16 v116, v2, v21 :: v_dual_dot2acc_f32_f16 v143, v4, v8
	s_delay_alu instid0(VALU_DEP_3)
	s_and_b32 s0, s0, s2
	v_dual_dot2acc_f32_f16 v112, v3, v10 :: v_dual_dot2acc_f32_f16 v125, v0, v20
	v_dual_dot2acc_f32_f16 v157, v0, v18 :: v_dual_dot2acc_f32_f16 v152, v1, v19
	;; [unrolled: 1-line block ×16, first 2 shown]
	s_waitcnt vmcnt(15)
	v_cndmask_b32_e64 v0, 0, v22, s1
	v_or_b32_e32 v22, 1, v16
	v_cndmask_b32_e64 v15, 0, v23, s1
	v_dual_dot2acc_f32_f16 v103, v5, v10 :: v_dual_dot2acc_f32_f16 v132, v6, v8
	s_delay_alu instid0(VALU_DEP_4)
	v_lshrrev_b32_e32 v1, 16, v0
	s_waitcnt vmcnt(14)
	v_cndmask_b32_e64 v2, 0, v24, s0
	v_cvt_f32_f16_e32 v0, v0
	v_dual_dot2acc_f32_f16 v102, v5, v11 :: v_dual_dot2acc_f32_f16 v131, v6, v9
	v_cvt_f32_f16_e32 v1, v1
	s_delay_alu instid0(VALU_DEP_4)
	v_cvt_f32_f16_e32 v3, v2
	v_dot2acc_f32_f16 v106, v6, v21
	v_dot2acc_f32_f16 v134, v7, v18
	v_lshrrev_b32_e32 v2, 16, v2
	v_add_f32_e32 v1, v158, v1
	v_dual_add_f32 v3, v157, v3 :: v_dual_dot2acc_f32_f16 v108, v7, v20
	v_cndmask_b32_e64 v20, 0, v25, s0
	v_cmp_gt_i32_e64 s0, s31, v22
	s_delay_alu instid0(VALU_DEP_4)
	v_max_f32_e32 v24, 0, v1
	v_cvt_f32_f16_e32 v2, v2
	v_dot2acc_f32_f16 v109, v7, v21
	v_max_f32_e32 v25, 0, v3
	s_and_b32 s1, s0, vcc_lo
	s_and_b32 s0, s0, s2
	s_waitcnt vmcnt(13)
	v_cndmask_b32_e64 v4, 0, v26, s1
	v_cndmask_b32_e64 v21, 0, v27, s1
	v_or_b32_e32 v27, 2, v16
	s_waitcnt vmcnt(12)
	v_cndmask_b32_e64 v26, 0, v29, s0
	v_dual_dot2acc_f32_f16 v104, v6, v11 :: v_dual_dot2acc_f32_f16 v133, v7, v9
	v_lshrrev_b32_e32 v1, 16, v4
	v_add_nc_u32_e32 v10, 0x42, v16
	s_delay_alu instid0(VALU_DEP_2) | instskip(NEXT) | instid1(VALU_DEP_1)
	v_cvt_f32_f16_e32 v1, v1
	v_dual_add_f32 v0, v159, v0 :: v_dual_add_f32 v1, v154, v1
	s_delay_alu instid0(VALU_DEP_1) | instskip(SKIP_2) | instid1(VALU_DEP_3)
	v_dual_max_f32 v23, 0, v0 :: v_dual_add_f32 v0, v156, v2
	v_cndmask_b32_e64 v2, 0, v28, s0
	v_cmp_gt_i32_e64 s0, s31, v27
	v_max_f32_e32 v28, 0, v0
	v_cvt_f32_f16_e32 v0, v4
	s_delay_alu instid0(VALU_DEP_3)
	s_and_b32 s1, s0, vcc_lo
	v_cvt_f32_f16_e32 v3, v2
	v_lshrrev_b32_e32 v2, 16, v2
	s_waitcnt vmcnt(11)
	v_cndmask_b32_e64 v4, 0, v30, s1
	v_cndmask_b32_e64 v29, 0, v31, s1
	v_max_f32_e32 v31, 0, v1
	v_dual_add_f32 v3, v153, v3 :: v_dual_add_f32 v0, v155, v0
	v_cvt_f32_f16_e32 v2, v2
	v_lshrrev_b32_e32 v1, 16, v4
	s_and_b32 s0, s0, s2
	s_delay_alu instid0(VALU_DEP_3)
	v_max_f32_e32 v55, 0, v3
	s_waitcnt vmcnt(10)
	v_cndmask_b32_e64 v33, 0, v33, s0
	v_cvt_f32_f16_e32 v1, v1
	v_max_f32_e32 v30, 0, v0
	v_add_f32_e32 v0, v152, v2
	v_cndmask_b32_e64 v2, 0, v32, s0
	v_or_b32_e32 v32, 3, v16
	v_add_f32_e32 v1, v150, v1
	s_delay_alu instid0(VALU_DEP_3) | instskip(NEXT) | instid1(VALU_DEP_3)
	v_cvt_f32_f16_e32 v3, v2
	v_cmp_gt_i32_e64 s0, s31, v32
	v_max_f32_e32 v56, 0, v0
	v_cvt_f32_f16_e32 v0, v4
	v_lshrrev_b32_e32 v2, 16, v2
	v_add_f32_e32 v3, v149, v3
	s_and_b32 s1, s0, vcc_lo
	s_delay_alu instid0(VALU_DEP_3) | instskip(NEXT) | instid1(VALU_DEP_3)
	v_dual_max_f32 v57, 0, v1 :: v_dual_add_f32 v0, v151, v0
	v_cvt_f32_f16_e32 v2, v2
	s_waitcnt vmcnt(9)
	v_cndmask_b32_e64 v4, 0, v34, s1
	s_and_b32 s0, s0, s2
	v_max_f32_e32 v58, 0, v3
	v_dual_max_f32 v34, 0, v0 :: v_dual_add_f32 v1, v148, v2
	s_delay_alu instid0(VALU_DEP_3)
	v_lshrrev_b32_e32 v2, 16, v4
	s_waitcnt vmcnt(8)
	v_cndmask_b32_e64 v3, 0, v36, s0
	v_cndmask_b32_e64 v37, 0, v37, s0
	;; [unrolled: 1-line block ×3, first 2 shown]
	v_max_f32_e32 v36, 0, v1
	v_cvt_f32_f16_e32 v2, v2
	v_cvt_f32_f16_e32 v1, v4
	;; [unrolled: 1-line block ×3, first 2 shown]
	v_lshrrev_b32_e32 v3, 16, v3
	s_delay_alu instid0(VALU_DEP_4) | instskip(NEXT) | instid1(VALU_DEP_4)
	v_add_f32_e32 v2, v146, v2
	v_dual_add_f32 v5, v147, v1 :: v_dual_add_nc_u32 v0, 64, v16
	s_delay_alu instid0(VALU_DEP_3) | instskip(NEXT) | instid1(VALU_DEP_2)
	v_cvt_f32_f16_e32 v3, v3
	v_cmp_gt_i32_e64 s0, s31, v0
	s_delay_alu instid0(VALU_DEP_1)
	s_and_b32 s1, s0, vcc_lo
	s_and_b32 s0, s0, s2
	s_waitcnt vmcnt(7)
	v_cndmask_b32_e64 v1, 0, v39, s1
	v_max_f32_e32 v39, 0, v2
	v_cndmask_b32_e64 v6, 0, v38, s1
	v_add_f32_e32 v2, v144, v3
	s_waitcnt vmcnt(6)
	v_cndmask_b32_e64 v7, 0, v40, s0
	s_delay_alu instid0(VALU_DEP_3) | instskip(NEXT) | instid1(VALU_DEP_3)
	v_lshrrev_b32_e32 v3, 16, v6
	v_max_f32_e32 v40, 0, v2
	v_cvt_f32_f16_e32 v2, v6
	s_delay_alu instid0(VALU_DEP_4) | instskip(SKIP_2) | instid1(VALU_DEP_4)
	v_cvt_f32_f16_e32 v6, v7
	v_lshrrev_b32_e32 v7, 16, v7
	v_cvt_f32_f16_e32 v3, v3
	v_add_f32_e32 v2, v143, v2
	v_add_f32_e32 v4, v145, v4
	s_delay_alu instid0(VALU_DEP_4) | instskip(NEXT) | instid1(VALU_DEP_3)
	v_cvt_f32_f16_e32 v7, v7
	v_dual_add_f32 v8, v142, v3 :: v_dual_max_f32 v3, 0, v2
	s_delay_alu instid0(VALU_DEP_3) | instskip(NEXT) | instid1(VALU_DEP_3)
	v_max_f32_e32 v59, 0, v4
	v_dual_add_f32 v7, v140, v7 :: v_dual_add_nc_u32 v4, 0x41, v16
	v_max_f32_e32 v38, 0, v5
	v_cndmask_b32_e64 v5, 0, v41, s0
	v_cvt_f16_f32_e32 v3, v3
	s_delay_alu instid0(VALU_DEP_4) | instskip(SKIP_1) | instid1(VALU_DEP_2)
	v_cmp_gt_i32_e64 s0, s31, v4
	v_max_f32_e32 v7, 0, v7
	s_and_b32 s1, s0, vcc_lo
	s_and_b32 s0, s0, s2
	s_waitcnt vmcnt(5)
	v_cndmask_b32_e64 v9, 0, v42, s1
	s_waitcnt vmcnt(4)
	v_cndmask_b32_e64 v12, 0, v44, s0
	v_cndmask_b32_e64 v13, 0, v43, s1
	v_add_nc_u32_e32 v44, 0x43, v16
	v_cvt_f16_f32_e32 v7, v7
	v_lshrrev_b32_e32 v11, 16, v9
	v_cvt_f32_f16_e32 v14, v12
	v_lshrrev_b32_e32 v12, 16, v12
	v_cvt_f32_f16_e32 v9, v9
	s_delay_alu instid0(VALU_DEP_4) | instskip(NEXT) | instid1(VALU_DEP_4)
	v_cvt_f32_f16_e32 v11, v11
	v_add_f32_e32 v14, v137, v14
	s_delay_alu instid0(VALU_DEP_4) | instskip(NEXT) | instid1(VALU_DEP_4)
	v_cvt_f32_f16_e32 v19, v12
	v_add_f32_e32 v9, v139, v9
	s_delay_alu instid0(VALU_DEP_1) | instskip(NEXT) | instid1(VALU_DEP_1)
	v_dual_add_f32 v11, v138, v11 :: v_dual_max_f32 v42, 0, v9
	v_dual_max_f32 v12, 0, v11 :: v_dual_max_f32 v11, 0, v14
	s_delay_alu instid0(VALU_DEP_4) | instskip(SKIP_4) | instid1(VALU_DEP_2)
	v_add_f32_e32 v14, v136, v19
	v_max_f32_e32 v2, 0, v8
	v_cndmask_b32_e64 v8, 0, v45, s0
	v_cmp_gt_i32_e64 s0, s31, v10
	v_cvt_f16_f32_e32 v11, v11
	s_and_b32 s1, s0, vcc_lo
	s_and_b32 s0, s0, s2
	s_waitcnt vmcnt(3)
	v_cndmask_b32_e64 v18, 0, v46, s1
	s_waitcnt vmcnt(2)
	v_cndmask_b32_e64 v43, 0, v49, s0
	v_cndmask_b32_e64 v19, 0, v48, s0
	v_cmp_gt_i32_e64 s0, s31, v44
	v_cndmask_b32_e64 v41, 0, v47, s1
	v_lshrrev_b32_e32 v9, 16, v18
	v_cvt_f32_f16_e32 v18, v18
	v_cmp_gt_i32_e64 s1, s11, v16
	s_and_b32 vcc_lo, s0, vcc_lo
	s_and_b32 s0, s0, s2
	v_cvt_f32_f16_e32 v9, v9
	v_add_f32_e32 v18, v132, v18
	s_waitcnt vmcnt(0)
	v_cndmask_b32_e64 v49, 0, v52, s0
	v_dual_add_f32 v6, v141, v6 :: v_dual_cndmask_b32 v47, 0, v51
	v_add_f32_e32 v45, v131, v9
	v_max_f32_e32 v9, 0, v14
	v_cvt_f32_f16_e32 v14, v19
	v_max_f32_e32 v46, 0, v18
	v_lshrrev_b32_e32 v18, 16, v19
	v_cndmask_b32_e32 v19, 0, v50, vcc_lo
	v_cndmask_b32_e64 v48, 0, v53, s0
	v_add_f32_e32 v14, v128, v14
	v_cmp_gt_i32_e32 vcc_lo, s27, v17
	v_cvt_f32_f16_e32 v18, v18
	v_cvt_f32_f16_e32 v50, v19
	v_lshrrev_b32_e32 v19, 16, v19
	v_max_f32_e32 v51, 0, v14
	v_lshrrev_b32_e32 v14, 16, v49
	v_add_f32_e32 v18, v127, v18
	v_add_f32_e32 v50, v126, v50
	s_and_b32 s0, s1, vcc_lo
	s_lshl_b32 s2, s35, 6
	v_cvt_f32_f16_e32 v14, v14
	v_max_f32_e32 v52, 0, v18
	v_cvt_f32_f16_e32 v18, v19
	v_cvt_f32_f16_e32 v19, v49
	v_max_f32_e32 v49, 0, v50
	v_lshrrev_b32_e32 v50, 16, v15
	v_cvt_f32_f16_e32 v15, v15
	v_add_f32_e32 v53, v135, v14
	v_mul_lo_u32 v14, v16, s34
	v_dual_max_f32 v6, 0, v6 :: v_dual_add_f32 v19, v134, v19
	v_cvt_f32_f16_e32 v50, v50
	v_dual_add_f32 v18, v133, v18 :: v_dual_add_f32 v15, v130, v15
	v_cvt_f16_f32_e32 v16, v24
	s_delay_alu instid0(VALU_DEP_3) | instskip(SKIP_1) | instid1(VALU_DEP_4)
	v_dual_max_f32 v61, 0, v19 :: v_dual_add_f32 v50, v129, v50
	v_cvt_f32_f16_e32 v24, v26
	v_max_f32_e32 v60, 0, v18
	v_mad_u64_u32 v[18:19], null, v17, s35, v[14:15]
	s_delay_alu instid0(VALU_DEP_4)
	v_max_f32_e32 v19, 0, v50
	v_max_f32_e32 v15, 0, v15
	v_cvt_f16_f32_e32 v14, v23
	v_max_f32_e32 v53, 0, v53
	v_max_f32_e32 v45, 0, v45
	v_cvt_f16_f32_e32 v17, v19
	v_cvt_f16_f32_e32 v15, v15
	v_lshrrev_b32_e32 v19, 16, v20
	v_pack_b32_f16 v14, v14, v16
	v_cndmask_b32_e64 v16, 0x80000000, 0, s0
	v_cmp_gt_i32_e64 s0, s27, v54
	v_pack_b32_f16 v15, v15, v17
	v_cvt_f32_f16_e32 v17, v19
	v_cvt_f32_f16_e32 v19, v20
	v_lshl_add_u32 v16, v18, 1, v16
	s_and_b32 s1, s1, s0
	v_cvt_f16_f32_e32 v20, v28
	v_add_f32_e32 v17, v124, v17
	v_add_f32_e32 v19, v125, v19
	buffer_store_b64 v[14:15], v16, s[40:43], 0 offen
	v_cvt_f16_f32_e32 v14, v25
	v_cndmask_b32_e64 v23, 0x80000000, 0, s1
	v_max_f32_e32 v15, 0, v17
	v_lshrrev_b32_e32 v17, 16, v26
	v_max_f32_e32 v19, 0, v19
	v_pack_b32_f16 v14, v14, v20
	v_cmp_gt_i32_e64 s1, s11, v22
	v_cvt_f16_f32_e32 v15, v15
	v_cvt_f32_f16_e32 v17, v17
	v_cvt_f16_f32_e32 v19, v19
	v_cvt_f16_f32_e32 v25, v56
	s_and_b32 s3, s1, s0
	s_and_b32 s1, s1, vcc_lo
	v_add_f32_e32 v17, v123, v17
	v_pack_b32_f16 v15, v19, v15
	v_dual_add_f32 v19, v122, v24 :: v_dual_add_nc_u32 v16, s2, v18
	v_cvt_f16_f32_e32 v24, v55
	v_cndmask_b32_e64 v28, 0x80000000, 0, s1
	v_cmp_gt_i32_e64 s1, s11, v27
	s_delay_alu instid0(VALU_DEP_4)
	v_max_f32_e32 v19, 0, v19
	v_lshl_add_u32 v20, v16, 1, v23
	v_dual_max_f32 v16, 0, v17 :: v_dual_add_nc_u32 v23, s34, v16
	v_lshrrev_b32_e32 v17, 16, v21
	v_cvt_f32_f16_e32 v21, v21
	v_cvt_f16_f32_e32 v19, v19
	buffer_store_b64 v[14:15], v20, s[40:43], 0 offen
	v_cvt_f16_f32_e32 v26, v16
	v_cvt_f32_f16_e32 v17, v17
	v_pack_b32_f16 v16, v24, v25
	v_add_nc_u32_e32 v24, s34, v18
	v_cvt_f16_f32_e32 v18, v30
	v_cvt_f16_f32_e32 v25, v31
	v_add_f32_e32 v22, v120, v17
	v_add_f32_e32 v21, v121, v21
	v_pack_b32_f16 v17, v19, v26
	v_cndmask_b32_e64 v19, 0x80000000, 0, s3
	v_lshrrev_b32_e32 v26, 16, v29
	s_delay_alu instid0(VALU_DEP_4) | instskip(SKIP_1) | instid1(VALU_DEP_4)
	v_dual_max_f32 v22, 0, v22 :: v_dual_max_f32 v21, 0, v21
	v_pack_b32_f16 v18, v18, v25
	v_lshl_add_u32 v30, v23, 1, v19
	v_cvt_f32_f16_e32 v14, v29
	s_delay_alu instid0(VALU_DEP_4)
	v_cvt_f16_f32_e32 v22, v22
	v_cvt_f16_f32_e32 v21, v21
	v_cvt_f32_f16_e32 v20, v33
	buffer_store_b64 v[16:17], v30, s[40:43], 0 offen
	v_add_nc_u32_e32 v16, s34, v24
	s_and_b32 s3, s1, vcc_lo
	v_pack_b32_f16 v19, v21, v22
	v_cvt_f32_f16_e32 v21, v26
	v_lshl_add_u32 v22, v24, 1, v28
	v_add_f32_e32 v20, v117, v20
	v_add_f32_e32 v14, v118, v14
	v_cvt_f32_f16_e32 v24, v37
	v_add_f32_e32 v15, v119, v21
	buffer_store_b64 v[18:19], v22, s[40:43], 0 offen
	v_lshrrev_b32_e32 v18, 16, v33
	v_dual_max_f32 v14, 0, v14 :: v_dual_add_nc_u32 v23, s34, v23
	v_max_f32_e32 v15, 0, v15
	v_cndmask_b32_e64 v22, 0x80000000, 0, s3
	s_delay_alu instid0(VALU_DEP_4) | instskip(NEXT) | instid1(VALU_DEP_4)
	v_cvt_f32_f16_e32 v18, v18
	v_cvt_f16_f32_e32 v21, v14
	v_cvt_f16_f32_e32 v17, v34
	;; [unrolled: 1-line block ×4, first 2 shown]
	v_add_f32_e32 v18, v116, v18
	s_and_b32 s1, s1, s0
	v_cvt_f16_f32_e32 v25, v40
	v_pack_b32_f16 v15, v21, v15
	v_lshl_add_u32 v21, v16, 1, v22
	v_max_f32_e32 v16, 0, v18
	v_lshrrev_b32_e32 v18, 16, v37
	v_pack_b32_f16 v14, v17, v19
	v_max_f32_e32 v17, 0, v20
	v_cvt_f16_f32_e32 v19, v58
	v_cvt_f16_f32_e32 v20, v36
	v_cvt_f32_f16_e32 v18, v18
	v_cvt_f16_f32_e32 v22, v16
	v_cvt_f16_f32_e32 v17, v17
	v_lshrrev_b32_e32 v28, 16, v35
	v_pack_b32_f16 v16, v19, v20
	v_dual_add_f32 v18, v115, v18 :: v_dual_add_f32 v19, v114, v24
	v_cndmask_b32_e64 v20, 0x80000000, 0, s1
	v_cmp_gt_i32_e64 s1, s11, v32
	v_pack_b32_f16 v17, v17, v22
	s_delay_alu instid0(VALU_DEP_4) | instskip(SKIP_1) | instid1(VALU_DEP_4)
	v_dual_max_f32 v18, 0, v18 :: v_dual_max_f32 v19, 0, v19
	v_add_nc_u32_e32 v22, s34, v23
	s_and_b32 s3, s1, s0
	v_cvt_f16_f32_e32 v24, v59
	s_delay_alu instid0(VALU_DEP_3)
	v_cvt_f16_f32_e32 v26, v18
	v_cvt_f16_f32_e32 v19, v19
	v_cndmask_b32_e64 v27, 0x80000000, 0, s3
	v_lshl_add_u32 v20, v23, 1, v20
	v_pack_b32_f16 v18, v24, v25
	v_cvt_f32_f16_e32 v24, v28
	v_pack_b32_f16 v19, v19, v26
	v_lshl_add_u32 v23, v22, 1, v27
	s_clause 0x2
	buffer_store_b64 v[14:15], v21, s[40:43], 0 offen
	buffer_store_b64 v[16:17], v20, s[40:43], 0 offen
	;; [unrolled: 1-line block ×3, first 2 shown]
	v_lshrrev_b32_e32 v17, 16, v47
	v_cvt_f32_f16_e32 v25, v35
	s_and_b32 s1, s1, vcc_lo
	v_cvt_f32_f16_e32 v20, v47
	v_cndmask_b32_e64 v23, 0x80000000, 0, s1
	v_cvt_f32_f16_e32 v17, v17
	v_add_f32_e32 v15, v112, v25
	v_cvt_f16_f32_e32 v18, v38
	v_cvt_f16_f32_e32 v19, v39
	s_delay_alu instid0(VALU_DEP_4) | instskip(SKIP_4) | instid1(VALU_DEP_4)
	v_dual_add_f32 v20, v110, v20 :: v_dual_add_f32 v17, v113, v17
	v_subrev_nc_u32_e32 v16, s2, v22
	v_max_f32_e32 v15, 0, v15
	v_cmp_gt_i32_e64 s1, s11, v44
	v_cvt_f16_f32_e32 v9, v9
	v_dual_max_f32 v17, 0, v17 :: v_dual_lshlrev_b32 v22, 1, v16
	v_add_f32_e32 v14, v111, v24
	v_cvt_f16_f32_e32 v15, v15
	s_and_b32 s3, s1, vcc_lo
	s_delay_alu instid0(VALU_DEP_3)
	v_cvt_f16_f32_e32 v17, v17
	s_and_b32 s1, s1, s0
	v_max_f32_e32 v14, 0, v14
	v_cndmask_b32_e64 v24, 0x80000000, 0, s1
	v_cmp_ge_i32_e64 s1, s11, v44
	v_cvt_f16_f32_e32 v6, v6
	v_cvt_f16_f32_e32 v2, v2
	;; [unrolled: 1-line block ×3, first 2 shown]
	v_pack_b32_f16 v14, v18, v19
	v_dual_max_f32 v18, 0, v20 :: v_dual_add_nc_u32 v19, v22, v23
	v_lshrrev_b32_e32 v23, 16, v48
	s_delay_alu instid0(VALU_DEP_4)
	v_pack_b32_f16 v15, v15, v21
	v_cvt_f16_f32_e32 v20, v49
	v_cvt_f16_f32_e32 v21, v60
	;; [unrolled: 1-line block ×3, first 2 shown]
	s_and_b32 s1, s1, s0
	buffer_store_b64 v[14:15], v19, s[40:43], 0 offen
	v_cvt_f32_f16_e32 v19, v23
	v_pack_b32_f16 v14, v20, v21
	v_cvt_f32_f16_e32 v20, v48
	v_pack_b32_f16 v15, v18, v17
	v_cndmask_b32_e64 v17, 0x80000000, 0, s3
	v_add_f32_e32 v18, v109, v19
	s_lshl_b32 s3, s34, 7
	v_add_f32_e32 v19, v108, v20
	v_lshl_add_u32 v21, s4, 6, v16
	v_add3_u32 v20, v17, s3, v22
	v_max_f32_e32 v16, 0, v18
	v_lshrrev_b32_e32 v17, 16, v43
	v_max_f32_e32 v18, 0, v19
	v_cvt_f16_f32_e32 v19, v61
	v_cvt_f16_f32_e32 v22, v53
	;; [unrolled: 1-line block ×3, first 2 shown]
	v_cvt_f32_f16_e32 v16, v17
	v_cvt_f32_f16_e32 v17, v43
	v_cvt_f16_f32_e32 v18, v18
	v_cndmask_b32_e64 v27, 0x80000000, 0, s1
	v_cmp_gt_i32_e64 s1, s11, v10
	s_delay_alu instid0(VALU_DEP_4) | instskip(SKIP_3) | instid1(VALU_DEP_4)
	v_dual_add_f32 v25, v106, v16 :: v_dual_add_f32 v26, v107, v17
	v_pack_b32_f16 v16, v19, v22
	v_pack_b32_f16 v17, v18, v23
	v_lshl_add_u32 v22, v21, 1, v24
	v_dual_max_f32 v18, 0, v25 :: v_dual_max_f32 v19, 0, v26
	v_cvt_f16_f32_e32 v23, v51
	v_cvt_f16_f32_e32 v24, v52
	v_subrev_nc_u32_e32 v21, s34, v21
	s_delay_alu instid0(VALU_DEP_4)
	v_cvt_f16_f32_e32 v25, v18
	v_cvt_f16_f32_e32 v19, v19
	v_lshrrev_b32_e32 v26, 16, v41
	v_pack_b32_f16 v18, v23, v24
	v_cvt_f32_f16_e32 v24, v41
	s_clause 0x1
	buffer_store_b64 v[14:15], v20, s[40:43], 0 offen
	buffer_store_b64 v[16:17], v22, s[40:43], 0 offen
	v_pack_b32_f16 v19, v19, v25
	v_lshl_add_u32 v25, v21, 1, v27
	v_cvt_f32_f16_e32 v23, v26
	v_cvt_f16_f32_e32 v17, v46
	v_cvt_f32_f16_e32 v20, v13
	v_add_f32_e32 v15, v105, v24
	buffer_store_b64 v[18:19], v25, s[40:43], 0 offen
	v_cvt_f16_f32_e32 v19, v45
	v_lshrrev_b32_e32 v18, 16, v13
	s_and_b32 s1, s1, vcc_lo
	v_max_f32_e32 v15, 0, v15
	v_subrev_nc_u32_e32 v16, s2, v21
	v_pack_b32_f16 v13, v17, v19
	v_dual_add_f32 v17, v103, v20 :: v_dual_add_f32 v14, v104, v23
	s_delay_alu instid0(VALU_DEP_4) | instskip(SKIP_2) | instid1(VALU_DEP_4)
	v_cvt_f16_f32_e32 v15, v15
	v_cvt_f32_f16_e32 v18, v18
	v_cndmask_b32_e64 v21, 0x80000000, 0, s1
	v_dual_max_f32 v17, 0, v17 :: v_dual_max_f32 v14, 0, v14
	v_lshrrev_b32_e32 v20, 16, v8
	v_cmp_ge_i32_e64 s1, s11, v10
	v_subrev_nc_u32_e32 v19, s34, v16
	v_cvt_f16_f32_e32 v10, v12
	v_cvt_f16_f32_e32 v14, v14
	v_cvt_f32_f16_e32 v20, v20
	v_cvt_f32_f16_e32 v8, v8
	s_and_b32 s1, s1, vcc_lo
	v_cvt_f16_f32_e32 v17, v17
	v_pack_b32_f16 v14, v15, v14
	v_add_f32_e32 v15, v102, v18
	v_lshl_add_u32 v18, v16, 1, v21
	v_cvt_f16_f32_e32 v16, v42
	v_cndmask_b32_e64 v21, 0x80000000, 0, s1
	s_delay_alu instid0(VALU_DEP_4) | instskip(SKIP_1) | instid1(VALU_DEP_2)
	v_dual_add_f32 v8, v101, v8 :: v_dual_max_f32 v15, 0, v15
	v_cmp_gt_i32_e64 s1, s11, v4
	v_max_f32_e32 v8, 0, v8
	s_delay_alu instid0(VALU_DEP_3)
	v_cvt_f16_f32_e32 v12, v15
	v_pack_b32_f16 v15, v16, v10
	v_add_f32_e32 v10, v100, v20
	s_and_b32 s1, s1, s0
	v_cvt_f16_f32_e32 v20, v8
	v_pack_b32_f16 v16, v17, v12
	v_lshl_add_u32 v12, v19, 1, v21
	v_dual_max_f32 v10, 0, v10 :: v_dual_add_nc_u32 v17, s2, v19
	v_lshrrev_b32_e32 v19, 16, v5
	v_cvt_f32_f16_e32 v5, v5
	v_pack_b32_f16 v8, v11, v9
	v_cndmask_b32_e64 v21, 0x80000000, 0, s1
	v_cvt_f16_f32_e32 v10, v10
	v_cvt_f32_f16_e32 v19, v19
	v_add_f32_e32 v5, v98, v5
	v_cmp_ge_i32_e64 s1, s11, v4
	v_cmp_gt_i32_e64 s2, s11, v0
	v_pack_b32_f16 v9, v20, v10
	v_add_f32_e32 v10, v99, v19
	v_lshrrev_b32_e32 v19, 16, v1
	v_max_f32_e32 v20, 0, v5
	v_pack_b32_f16 v5, v6, v7
	v_cvt_f32_f16_e32 v1, v1
	v_lshl_add_u32 v11, v17, 1, v21
	v_cvt_f32_f16_e32 v7, v19
	v_max_f32_e32 v10, 0, v10
	v_subrev_nc_u32_e32 v17, s34, v17
	v_add_f32_e32 v0, v96, v1
	s_and_b32 s0, s1, s0
	v_add_f32_e32 v7, v97, v7
	v_cndmask_b32_e64 v1, 0x80000000, 0, s0
	s_and_b32 s0, s2, vcc_lo
	v_cvt_f16_f32_e32 v6, v10
	s_delay_alu instid0(VALU_DEP_3)
	v_dual_max_f32 v7, 0, v7 :: v_dual_lshlrev_b32 v10, 1, v17
	v_max_f32_e32 v0, 0, v0
	v_cndmask_b32_e64 v17, 0x80000000, 0, s0
	s_lshl_b32 s0, s35, 7
	v_cvt_f16_f32_e32 v4, v20
	v_cvt_f16_f32_e32 v7, v7
	;; [unrolled: 1-line block ×3, first 2 shown]
	v_subrev_nc_u32_e32 v17, s0, v17
	v_pack_b32_f16 v0, v3, v2
	v_pack_b32_f16 v6, v4, v6
	v_add_nc_u32_e32 v4, v10, v1
	v_pack_b32_f16 v1, v19, v7
	v_add_nc_u32_e32 v2, v17, v10
	s_clause 0x4
	buffer_store_b64 v[13:14], v18, s[40:43], 0 offen
	buffer_store_b64 v[15:16], v12, s[40:43], 0 offen
	;; [unrolled: 1-line block ×5, first 2 shown]
	s_nop 0
	s_sendmsg sendmsg(MSG_DEALLOC_VGPRS)
	s_endpgm
	.section	.rodata,"a",@progbits
	.p2align	6, 0x0
	.amdhsa_kernel _ZN2ck16tensor_operation6device12_GLOBAL__N_137kernel_grouped_conv_fwd_dl_multiple_dINS_32GridwiseGemmDlMultipleD_km_kn_mnILi256EDF16_fNS_5TupleIJDF16_EEEDF16_NS0_12element_wise11PassThroughES8_NS7_7AddReluELNS_25InMemoryDataOperationEnumE0ENS_16TensorDescriptorINS5_IJNS_5EmbedINS5_IJiiiiiEEESD_Lb0EEENS_11PassThroughIiEENS_3PadIiiiLb0EEESI_SI_SG_SG_NSC_INS5_IJiiEEESJ_Lb0EEESK_SK_SG_NS_23Merge_v2_magic_divisionINS5_IJiiiiEEEEESN_NS_8RightPadIiiLb0EEESP_NS_7UnMergeISJ_Lb0EEESG_EEENS5_IJNS_8SequenceIJLi0EEEENST_IJLi1EEEENST_IJLi2EEEENST_IJLi3EEEENST_IJLi4EEEENST_IJLi5EEEENST_IJLi6EEEENST_IJLi7EEEENST_IJLi8EEEENST_IJLi9EEEENST_IJLi10EEEENST_IJLi11ELi13ELi15ELi17EEEENST_IJLi12ELi14ELi16ELi18EEEENST_IJLi19EEEENST_IJLi20EEEENST_IJLi22EEEENST_IJLi21EEEEEEENS5_IJNST_IJLi1ELi2ELi3ELi4ELi5EEEES10_S11_S12_S13_S14_NST_IJLi11EEEENST_IJLi12ELi13EEEENST_IJLi14ELi15EEEENST_IJLi16ELi17EEEENST_IJLi18EEEES17_S18_S1A_S19_NST_IJLi23ELi24EEEENST_IJLi25EEEEEEENST_IJLi23ELi25ELi24EEEElEENSB_INS5_IJSR_SP_SP_SR_SG_EEENS5_IJSU_SV_SW_SY_SX_EEENS5_IJNST_IJLi1ELi2EEEESX_SY_NST_IJLi5ELi6EEEES11_EEENST_IJLi5ELi7ELi6EEEElEENSB_INS5_IJSK_SP_SP_EEENS5_IJSU_SV_SW_EEENS5_IJS1P_SX_SY_EEENST_IJLi3ELi4EEEElEELi128ELi128ELi16ELi2ELi4ELi4ELi1ENST_IJLi8ELi2EEEES1Z_NST_IJLi8ELi1ELi1ELi2EEEENST_IJLi2ELi1ELi128ELi1EEEENST_IJLi1ELi2ELi0ELi3EEEES22_NST_IJLi4ELi1ELi1ELi2EEEES22_NST_IJLi1ELi1ELi1ELi2EEEES20_S21_S22_S22_S23_S22_S24_NST_IJLi0ELi1ELi2ELi3ELi4ELi5EEEELi5ELi4EEEDF16_NS5_IJPKDF16_EEEDF16_S8_S8_S9_NSB_INS5_IJSE_SG_SI_SI_SI_SG_SG_SK_SK_SK_SG_SN_SN_SP_SP_SR_SG_SG_NSQ_INS5_IJiNS_17integral_constantIiLi128EEEEEELb0EEENSF_INS2A_IiLi2EEEEEEEENS5_IJSU_SV_SW_SX_SY_SZ_S10_S11_S12_S13_S14_S15_S16_S17_S18_S19_S1A_NST_IJLi23EEEES1J_NST_IJLi24EEEEEEENS5_IJS1C_S10_S11_S12_S13_S14_S1D_S1E_S1F_S1G_S1H_S17_S18_S1A_S19_S1I_S1J_NST_IJLi26EEEENST_IJLi27ELi28EEEENST_IJLi29EEEEEEENST_IJLi26ELi27ELi28ELi29EEEElEENSB_INS5_IJSR_SP_SP_SR_SG_SG_S2D_S2F_EEENS5_IJSU_SV_SW_SY_SX_SZ_S11_S10_EEENS5_IJS1P_SX_SY_S1Q_S11_S12_NST_IJLi9ELi10EEEES1D_EEENST_IJLi8ELi9ELi10ELi11EEEElEENS5_IJNSB_INS5_IJSK_SP_SP_NSQ_INS5_IJiS2E_NS2A_IiLi64EEEEEELb0EEES2Y_EEENS5_IJSU_SV_SW_SX_SY_EEENS5_IJS1P_SX_SY_NST_IJLi5ELi6ELi7EEEENST_IJLi8ELi9ELi10EEEEEEENST_IJLi5ELi6ELi7ELi8ELi9ELi10EEEElEEEEES35_NS_31BlockToCTileMap_M00_N00_M01_N01ILi128ELi128ES1Y_Lb0EEENS1_30ComputePtrOffsetOfStridedBatchILi1ELi1ELi1EvEELb1ELb1EEEvPKT0_S3D_T1_PT2_T3_T4_T5_iT6_T7_T8_T9_T10_T11_
		.amdhsa_group_segment_fixed_size 32768
		.amdhsa_private_segment_fixed_size 0
		.amdhsa_kernarg_size 1024
		.amdhsa_user_sgpr_count 15
		.amdhsa_user_sgpr_dispatch_ptr 0
		.amdhsa_user_sgpr_queue_ptr 0
		.amdhsa_user_sgpr_kernarg_segment_ptr 1
		.amdhsa_user_sgpr_dispatch_id 0
		.amdhsa_user_sgpr_private_segment_size 0
		.amdhsa_wavefront_size32 1
		.amdhsa_uses_dynamic_stack 0
		.amdhsa_enable_private_segment 0
		.amdhsa_system_sgpr_workgroup_id_x 1
		.amdhsa_system_sgpr_workgroup_id_y 0
		.amdhsa_system_sgpr_workgroup_id_z 0
		.amdhsa_system_sgpr_workgroup_info 0
		.amdhsa_system_vgpr_workitem_id 0
		.amdhsa_next_free_vgpr 180
		.amdhsa_next_free_sgpr 79
		.amdhsa_reserve_vcc 1
		.amdhsa_float_round_mode_32 0
		.amdhsa_float_round_mode_16_64 0
		.amdhsa_float_denorm_mode_32 3
		.amdhsa_float_denorm_mode_16_64 3
		.amdhsa_dx10_clamp 1
		.amdhsa_ieee_mode 1
		.amdhsa_fp16_overflow 0
		.amdhsa_workgroup_processor_mode 1
		.amdhsa_memory_ordered 1
		.amdhsa_forward_progress 0
		.amdhsa_shared_vgpr_count 0
		.amdhsa_exception_fp_ieee_invalid_op 0
		.amdhsa_exception_fp_denorm_src 0
		.amdhsa_exception_fp_ieee_div_zero 0
		.amdhsa_exception_fp_ieee_overflow 0
		.amdhsa_exception_fp_ieee_underflow 0
		.amdhsa_exception_fp_ieee_inexact 0
		.amdhsa_exception_int_div_zero 0
	.end_amdhsa_kernel
	.section	.text._ZN2ck16tensor_operation6device12_GLOBAL__N_137kernel_grouped_conv_fwd_dl_multiple_dINS_32GridwiseGemmDlMultipleD_km_kn_mnILi256EDF16_fNS_5TupleIJDF16_EEEDF16_NS0_12element_wise11PassThroughES8_NS7_7AddReluELNS_25InMemoryDataOperationEnumE0ENS_16TensorDescriptorINS5_IJNS_5EmbedINS5_IJiiiiiEEESD_Lb0EEENS_11PassThroughIiEENS_3PadIiiiLb0EEESI_SI_SG_SG_NSC_INS5_IJiiEEESJ_Lb0EEESK_SK_SG_NS_23Merge_v2_magic_divisionINS5_IJiiiiEEEEESN_NS_8RightPadIiiLb0EEESP_NS_7UnMergeISJ_Lb0EEESG_EEENS5_IJNS_8SequenceIJLi0EEEENST_IJLi1EEEENST_IJLi2EEEENST_IJLi3EEEENST_IJLi4EEEENST_IJLi5EEEENST_IJLi6EEEENST_IJLi7EEEENST_IJLi8EEEENST_IJLi9EEEENST_IJLi10EEEENST_IJLi11ELi13ELi15ELi17EEEENST_IJLi12ELi14ELi16ELi18EEEENST_IJLi19EEEENST_IJLi20EEEENST_IJLi22EEEENST_IJLi21EEEEEEENS5_IJNST_IJLi1ELi2ELi3ELi4ELi5EEEES10_S11_S12_S13_S14_NST_IJLi11EEEENST_IJLi12ELi13EEEENST_IJLi14ELi15EEEENST_IJLi16ELi17EEEENST_IJLi18EEEES17_S18_S1A_S19_NST_IJLi23ELi24EEEENST_IJLi25EEEEEEENST_IJLi23ELi25ELi24EEEElEENSB_INS5_IJSR_SP_SP_SR_SG_EEENS5_IJSU_SV_SW_SY_SX_EEENS5_IJNST_IJLi1ELi2EEEESX_SY_NST_IJLi5ELi6EEEES11_EEENST_IJLi5ELi7ELi6EEEElEENSB_INS5_IJSK_SP_SP_EEENS5_IJSU_SV_SW_EEENS5_IJS1P_SX_SY_EEENST_IJLi3ELi4EEEElEELi128ELi128ELi16ELi2ELi4ELi4ELi1ENST_IJLi8ELi2EEEES1Z_NST_IJLi8ELi1ELi1ELi2EEEENST_IJLi2ELi1ELi128ELi1EEEENST_IJLi1ELi2ELi0ELi3EEEES22_NST_IJLi4ELi1ELi1ELi2EEEES22_NST_IJLi1ELi1ELi1ELi2EEEES20_S21_S22_S22_S23_S22_S24_NST_IJLi0ELi1ELi2ELi3ELi4ELi5EEEELi5ELi4EEEDF16_NS5_IJPKDF16_EEEDF16_S8_S8_S9_NSB_INS5_IJSE_SG_SI_SI_SI_SG_SG_SK_SK_SK_SG_SN_SN_SP_SP_SR_SG_SG_NSQ_INS5_IJiNS_17integral_constantIiLi128EEEEEELb0EEENSF_INS2A_IiLi2EEEEEEEENS5_IJSU_SV_SW_SX_SY_SZ_S10_S11_S12_S13_S14_S15_S16_S17_S18_S19_S1A_NST_IJLi23EEEES1J_NST_IJLi24EEEEEEENS5_IJS1C_S10_S11_S12_S13_S14_S1D_S1E_S1F_S1G_S1H_S17_S18_S1A_S19_S1I_S1J_NST_IJLi26EEEENST_IJLi27ELi28EEEENST_IJLi29EEEEEEENST_IJLi26ELi27ELi28ELi29EEEElEENSB_INS5_IJSR_SP_SP_SR_SG_SG_S2D_S2F_EEENS5_IJSU_SV_SW_SY_SX_SZ_S11_S10_EEENS5_IJS1P_SX_SY_S1Q_S11_S12_NST_IJLi9ELi10EEEES1D_EEENST_IJLi8ELi9ELi10ELi11EEEElEENS5_IJNSB_INS5_IJSK_SP_SP_NSQ_INS5_IJiS2E_NS2A_IiLi64EEEEEELb0EEES2Y_EEENS5_IJSU_SV_SW_SX_SY_EEENS5_IJS1P_SX_SY_NST_IJLi5ELi6ELi7EEEENST_IJLi8ELi9ELi10EEEEEEENST_IJLi5ELi6ELi7ELi8ELi9ELi10EEEElEEEEES35_NS_31BlockToCTileMap_M00_N00_M01_N01ILi128ELi128ES1Y_Lb0EEENS1_30ComputePtrOffsetOfStridedBatchILi1ELi1ELi1EvEELb1ELb1EEEvPKT0_S3D_T1_PT2_T3_T4_T5_iT6_T7_T8_T9_T10_T11_,"axG",@progbits,_ZN2ck16tensor_operation6device12_GLOBAL__N_137kernel_grouped_conv_fwd_dl_multiple_dINS_32GridwiseGemmDlMultipleD_km_kn_mnILi256EDF16_fNS_5TupleIJDF16_EEEDF16_NS0_12element_wise11PassThroughES8_NS7_7AddReluELNS_25InMemoryDataOperationEnumE0ENS_16TensorDescriptorINS5_IJNS_5EmbedINS5_IJiiiiiEEESD_Lb0EEENS_11PassThroughIiEENS_3PadIiiiLb0EEESI_SI_SG_SG_NSC_INS5_IJiiEEESJ_Lb0EEESK_SK_SG_NS_23Merge_v2_magic_divisionINS5_IJiiiiEEEEESN_NS_8RightPadIiiLb0EEESP_NS_7UnMergeISJ_Lb0EEESG_EEENS5_IJNS_8SequenceIJLi0EEEENST_IJLi1EEEENST_IJLi2EEEENST_IJLi3EEEENST_IJLi4EEEENST_IJLi5EEEENST_IJLi6EEEENST_IJLi7EEEENST_IJLi8EEEENST_IJLi9EEEENST_IJLi10EEEENST_IJLi11ELi13ELi15ELi17EEEENST_IJLi12ELi14ELi16ELi18EEEENST_IJLi19EEEENST_IJLi20EEEENST_IJLi22EEEENST_IJLi21EEEEEEENS5_IJNST_IJLi1ELi2ELi3ELi4ELi5EEEES10_S11_S12_S13_S14_NST_IJLi11EEEENST_IJLi12ELi13EEEENST_IJLi14ELi15EEEENST_IJLi16ELi17EEEENST_IJLi18EEEES17_S18_S1A_S19_NST_IJLi23ELi24EEEENST_IJLi25EEEEEEENST_IJLi23ELi25ELi24EEEElEENSB_INS5_IJSR_SP_SP_SR_SG_EEENS5_IJSU_SV_SW_SY_SX_EEENS5_IJNST_IJLi1ELi2EEEESX_SY_NST_IJLi5ELi6EEEES11_EEENST_IJLi5ELi7ELi6EEEElEENSB_INS5_IJSK_SP_SP_EEENS5_IJSU_SV_SW_EEENS5_IJS1P_SX_SY_EEENST_IJLi3ELi4EEEElEELi128ELi128ELi16ELi2ELi4ELi4ELi1ENST_IJLi8ELi2EEEES1Z_NST_IJLi8ELi1ELi1ELi2EEEENST_IJLi2ELi1ELi128ELi1EEEENST_IJLi1ELi2ELi0ELi3EEEES22_NST_IJLi4ELi1ELi1ELi2EEEES22_NST_IJLi1ELi1ELi1ELi2EEEES20_S21_S22_S22_S23_S22_S24_NST_IJLi0ELi1ELi2ELi3ELi4ELi5EEEELi5ELi4EEEDF16_NS5_IJPKDF16_EEEDF16_S8_S8_S9_NSB_INS5_IJSE_SG_SI_SI_SI_SG_SG_SK_SK_SK_SG_SN_SN_SP_SP_SR_SG_SG_NSQ_INS5_IJiNS_17integral_constantIiLi128EEEEEELb0EEENSF_INS2A_IiLi2EEEEEEEENS5_IJSU_SV_SW_SX_SY_SZ_S10_S11_S12_S13_S14_S15_S16_S17_S18_S19_S1A_NST_IJLi23EEEES1J_NST_IJLi24EEEEEEENS5_IJS1C_S10_S11_S12_S13_S14_S1D_S1E_S1F_S1G_S1H_S17_S18_S1A_S19_S1I_S1J_NST_IJLi26EEEENST_IJLi27ELi28EEEENST_IJLi29EEEEEEENST_IJLi26ELi27ELi28ELi29EEEElEENSB_INS5_IJSR_SP_SP_SR_SG_SG_S2D_S2F_EEENS5_IJSU_SV_SW_SY_SX_SZ_S11_S10_EEENS5_IJS1P_SX_SY_S1Q_S11_S12_NST_IJLi9ELi10EEEES1D_EEENST_IJLi8ELi9ELi10ELi11EEEElEENS5_IJNSB_INS5_IJSK_SP_SP_NSQ_INS5_IJiS2E_NS2A_IiLi64EEEEEELb0EEES2Y_EEENS5_IJSU_SV_SW_SX_SY_EEENS5_IJS1P_SX_SY_NST_IJLi5ELi6ELi7EEEENST_IJLi8ELi9ELi10EEEEEEENST_IJLi5ELi6ELi7ELi8ELi9ELi10EEEElEEEEES35_NS_31BlockToCTileMap_M00_N00_M01_N01ILi128ELi128ES1Y_Lb0EEENS1_30ComputePtrOffsetOfStridedBatchILi1ELi1ELi1EvEELb1ELb1EEEvPKT0_S3D_T1_PT2_T3_T4_T5_iT6_T7_T8_T9_T10_T11_,comdat
.Lfunc_end9:
	.size	_ZN2ck16tensor_operation6device12_GLOBAL__N_137kernel_grouped_conv_fwd_dl_multiple_dINS_32GridwiseGemmDlMultipleD_km_kn_mnILi256EDF16_fNS_5TupleIJDF16_EEEDF16_NS0_12element_wise11PassThroughES8_NS7_7AddReluELNS_25InMemoryDataOperationEnumE0ENS_16TensorDescriptorINS5_IJNS_5EmbedINS5_IJiiiiiEEESD_Lb0EEENS_11PassThroughIiEENS_3PadIiiiLb0EEESI_SI_SG_SG_NSC_INS5_IJiiEEESJ_Lb0EEESK_SK_SG_NS_23Merge_v2_magic_divisionINS5_IJiiiiEEEEESN_NS_8RightPadIiiLb0EEESP_NS_7UnMergeISJ_Lb0EEESG_EEENS5_IJNS_8SequenceIJLi0EEEENST_IJLi1EEEENST_IJLi2EEEENST_IJLi3EEEENST_IJLi4EEEENST_IJLi5EEEENST_IJLi6EEEENST_IJLi7EEEENST_IJLi8EEEENST_IJLi9EEEENST_IJLi10EEEENST_IJLi11ELi13ELi15ELi17EEEENST_IJLi12ELi14ELi16ELi18EEEENST_IJLi19EEEENST_IJLi20EEEENST_IJLi22EEEENST_IJLi21EEEEEEENS5_IJNST_IJLi1ELi2ELi3ELi4ELi5EEEES10_S11_S12_S13_S14_NST_IJLi11EEEENST_IJLi12ELi13EEEENST_IJLi14ELi15EEEENST_IJLi16ELi17EEEENST_IJLi18EEEES17_S18_S1A_S19_NST_IJLi23ELi24EEEENST_IJLi25EEEEEEENST_IJLi23ELi25ELi24EEEElEENSB_INS5_IJSR_SP_SP_SR_SG_EEENS5_IJSU_SV_SW_SY_SX_EEENS5_IJNST_IJLi1ELi2EEEESX_SY_NST_IJLi5ELi6EEEES11_EEENST_IJLi5ELi7ELi6EEEElEENSB_INS5_IJSK_SP_SP_EEENS5_IJSU_SV_SW_EEENS5_IJS1P_SX_SY_EEENST_IJLi3ELi4EEEElEELi128ELi128ELi16ELi2ELi4ELi4ELi1ENST_IJLi8ELi2EEEES1Z_NST_IJLi8ELi1ELi1ELi2EEEENST_IJLi2ELi1ELi128ELi1EEEENST_IJLi1ELi2ELi0ELi3EEEES22_NST_IJLi4ELi1ELi1ELi2EEEES22_NST_IJLi1ELi1ELi1ELi2EEEES20_S21_S22_S22_S23_S22_S24_NST_IJLi0ELi1ELi2ELi3ELi4ELi5EEEELi5ELi4EEEDF16_NS5_IJPKDF16_EEEDF16_S8_S8_S9_NSB_INS5_IJSE_SG_SI_SI_SI_SG_SG_SK_SK_SK_SG_SN_SN_SP_SP_SR_SG_SG_NSQ_INS5_IJiNS_17integral_constantIiLi128EEEEEELb0EEENSF_INS2A_IiLi2EEEEEEEENS5_IJSU_SV_SW_SX_SY_SZ_S10_S11_S12_S13_S14_S15_S16_S17_S18_S19_S1A_NST_IJLi23EEEES1J_NST_IJLi24EEEEEEENS5_IJS1C_S10_S11_S12_S13_S14_S1D_S1E_S1F_S1G_S1H_S17_S18_S1A_S19_S1I_S1J_NST_IJLi26EEEENST_IJLi27ELi28EEEENST_IJLi29EEEEEEENST_IJLi26ELi27ELi28ELi29EEEElEENSB_INS5_IJSR_SP_SP_SR_SG_SG_S2D_S2F_EEENS5_IJSU_SV_SW_SY_SX_SZ_S11_S10_EEENS5_IJS1P_SX_SY_S1Q_S11_S12_NST_IJLi9ELi10EEEES1D_EEENST_IJLi8ELi9ELi10ELi11EEEElEENS5_IJNSB_INS5_IJSK_SP_SP_NSQ_INS5_IJiS2E_NS2A_IiLi64EEEEEELb0EEES2Y_EEENS5_IJSU_SV_SW_SX_SY_EEENS5_IJS1P_SX_SY_NST_IJLi5ELi6ELi7EEEENST_IJLi8ELi9ELi10EEEEEEENST_IJLi5ELi6ELi7ELi8ELi9ELi10EEEElEEEEES35_NS_31BlockToCTileMap_M00_N00_M01_N01ILi128ELi128ES1Y_Lb0EEENS1_30ComputePtrOffsetOfStridedBatchILi1ELi1ELi1EvEELb1ELb1EEEvPKT0_S3D_T1_PT2_T3_T4_T5_iT6_T7_T8_T9_T10_T11_, .Lfunc_end9-_ZN2ck16tensor_operation6device12_GLOBAL__N_137kernel_grouped_conv_fwd_dl_multiple_dINS_32GridwiseGemmDlMultipleD_km_kn_mnILi256EDF16_fNS_5TupleIJDF16_EEEDF16_NS0_12element_wise11PassThroughES8_NS7_7AddReluELNS_25InMemoryDataOperationEnumE0ENS_16TensorDescriptorINS5_IJNS_5EmbedINS5_IJiiiiiEEESD_Lb0EEENS_11PassThroughIiEENS_3PadIiiiLb0EEESI_SI_SG_SG_NSC_INS5_IJiiEEESJ_Lb0EEESK_SK_SG_NS_23Merge_v2_magic_divisionINS5_IJiiiiEEEEESN_NS_8RightPadIiiLb0EEESP_NS_7UnMergeISJ_Lb0EEESG_EEENS5_IJNS_8SequenceIJLi0EEEENST_IJLi1EEEENST_IJLi2EEEENST_IJLi3EEEENST_IJLi4EEEENST_IJLi5EEEENST_IJLi6EEEENST_IJLi7EEEENST_IJLi8EEEENST_IJLi9EEEENST_IJLi10EEEENST_IJLi11ELi13ELi15ELi17EEEENST_IJLi12ELi14ELi16ELi18EEEENST_IJLi19EEEENST_IJLi20EEEENST_IJLi22EEEENST_IJLi21EEEEEEENS5_IJNST_IJLi1ELi2ELi3ELi4ELi5EEEES10_S11_S12_S13_S14_NST_IJLi11EEEENST_IJLi12ELi13EEEENST_IJLi14ELi15EEEENST_IJLi16ELi17EEEENST_IJLi18EEEES17_S18_S1A_S19_NST_IJLi23ELi24EEEENST_IJLi25EEEEEEENST_IJLi23ELi25ELi24EEEElEENSB_INS5_IJSR_SP_SP_SR_SG_EEENS5_IJSU_SV_SW_SY_SX_EEENS5_IJNST_IJLi1ELi2EEEESX_SY_NST_IJLi5ELi6EEEES11_EEENST_IJLi5ELi7ELi6EEEElEENSB_INS5_IJSK_SP_SP_EEENS5_IJSU_SV_SW_EEENS5_IJS1P_SX_SY_EEENST_IJLi3ELi4EEEElEELi128ELi128ELi16ELi2ELi4ELi4ELi1ENST_IJLi8ELi2EEEES1Z_NST_IJLi8ELi1ELi1ELi2EEEENST_IJLi2ELi1ELi128ELi1EEEENST_IJLi1ELi2ELi0ELi3EEEES22_NST_IJLi4ELi1ELi1ELi2EEEES22_NST_IJLi1ELi1ELi1ELi2EEEES20_S21_S22_S22_S23_S22_S24_NST_IJLi0ELi1ELi2ELi3ELi4ELi5EEEELi5ELi4EEEDF16_NS5_IJPKDF16_EEEDF16_S8_S8_S9_NSB_INS5_IJSE_SG_SI_SI_SI_SG_SG_SK_SK_SK_SG_SN_SN_SP_SP_SR_SG_SG_NSQ_INS5_IJiNS_17integral_constantIiLi128EEEEEELb0EEENSF_INS2A_IiLi2EEEEEEEENS5_IJSU_SV_SW_SX_SY_SZ_S10_S11_S12_S13_S14_S15_S16_S17_S18_S19_S1A_NST_IJLi23EEEES1J_NST_IJLi24EEEEEEENS5_IJS1C_S10_S11_S12_S13_S14_S1D_S1E_S1F_S1G_S1H_S17_S18_S1A_S19_S1I_S1J_NST_IJLi26EEEENST_IJLi27ELi28EEEENST_IJLi29EEEEEEENST_IJLi26ELi27ELi28ELi29EEEElEENSB_INS5_IJSR_SP_SP_SR_SG_SG_S2D_S2F_EEENS5_IJSU_SV_SW_SY_SX_SZ_S11_S10_EEENS5_IJS1P_SX_SY_S1Q_S11_S12_NST_IJLi9ELi10EEEES1D_EEENST_IJLi8ELi9ELi10ELi11EEEElEENS5_IJNSB_INS5_IJSK_SP_SP_NSQ_INS5_IJiS2E_NS2A_IiLi64EEEEEELb0EEES2Y_EEENS5_IJSU_SV_SW_SX_SY_EEENS5_IJS1P_SX_SY_NST_IJLi5ELi6ELi7EEEENST_IJLi8ELi9ELi10EEEEEEENST_IJLi5ELi6ELi7ELi8ELi9ELi10EEEElEEEEES35_NS_31BlockToCTileMap_M00_N00_M01_N01ILi128ELi128ES1Y_Lb0EEENS1_30ComputePtrOffsetOfStridedBatchILi1ELi1ELi1EvEELb1ELb1EEEvPKT0_S3D_T1_PT2_T3_T4_T5_iT6_T7_T8_T9_T10_T11_
                                        ; -- End function
	.section	.AMDGPU.csdata,"",@progbits
; Kernel info:
; codeLenInByte = 27544
; NumSgprs: 81
; NumVgprs: 180
; ScratchSize: 0
; MemoryBound: 0
; FloatMode: 240
; IeeeMode: 1
; LDSByteSize: 32768 bytes/workgroup (compile time only)
; SGPRBlocks: 10
; VGPRBlocks: 22
; NumSGPRsForWavesPerEU: 81
; NumVGPRsForWavesPerEU: 180
; Occupancy: 8
; WaveLimiterHint : 0
; COMPUTE_PGM_RSRC2:SCRATCH_EN: 0
; COMPUTE_PGM_RSRC2:USER_SGPR: 15
; COMPUTE_PGM_RSRC2:TRAP_HANDLER: 0
; COMPUTE_PGM_RSRC2:TGID_X_EN: 1
; COMPUTE_PGM_RSRC2:TGID_Y_EN: 0
; COMPUTE_PGM_RSRC2:TGID_Z_EN: 0
; COMPUTE_PGM_RSRC2:TIDIG_COMP_CNT: 0
	.section	.text._ZN2ck16tensor_operation6device12_GLOBAL__N_137kernel_grouped_conv_fwd_dl_multiple_dINS_32GridwiseGemmDlMultipleD_km_kn_mnILi256EDF16_fNS_5TupleIJDF16_EEEDF16_NS0_12element_wise11PassThroughES8_NS7_7AddReluELNS_25InMemoryDataOperationEnumE0ENS_16TensorDescriptorINS5_IJNS_5EmbedINS5_IJiiiiiEEESD_Lb0EEENS_11PassThroughIiEENS_3PadIiiiLb0EEESI_SI_SG_SG_NSC_INS5_IJiiEEESJ_Lb0EEESK_SK_SG_NS_23Merge_v2_magic_divisionINS5_IJiiiiEEEEESN_NS_8RightPadIiiLb0EEESP_NS_7UnMergeISJ_Lb0EEESG_EEENS5_IJNS_8SequenceIJLi0EEEENST_IJLi1EEEENST_IJLi2EEEENST_IJLi3EEEENST_IJLi4EEEENST_IJLi5EEEENST_IJLi6EEEENST_IJLi7EEEENST_IJLi8EEEENST_IJLi9EEEENST_IJLi10EEEENST_IJLi11ELi13ELi15ELi17EEEENST_IJLi12ELi14ELi16ELi18EEEENST_IJLi19EEEENST_IJLi20EEEENST_IJLi22EEEENST_IJLi21EEEEEEENS5_IJNST_IJLi1ELi2ELi3ELi4ELi5EEEES10_S11_S12_S13_S14_NST_IJLi11EEEENST_IJLi12ELi13EEEENST_IJLi14ELi15EEEENST_IJLi16ELi17EEEENST_IJLi18EEEES17_S18_S1A_S19_NST_IJLi23ELi24EEEENST_IJLi25EEEEEEENST_IJLi23ELi25ELi24EEEElEENSB_INS5_IJSR_SP_SP_SR_SG_EEENS5_IJSU_SV_SW_SY_SX_EEENS5_IJNST_IJLi1ELi2EEEESX_SY_NST_IJLi5ELi6EEEES11_EEENST_IJLi5ELi7ELi6EEEElEENSB_INS5_IJSK_SP_SP_EEENS5_IJSU_SV_SW_EEENS5_IJS1P_SX_SY_EEENST_IJLi3ELi4EEEElEELi128ELi128ELi16ELi2ELi4ELi4ELi1ENST_IJLi8ELi2EEEES1Z_NST_IJLi8ELi1ELi1ELi2EEEENST_IJLi2ELi1ELi128ELi1EEEENST_IJLi1ELi2ELi0ELi3EEEES22_NST_IJLi4ELi1ELi1ELi2EEEES22_NST_IJLi1ELi1ELi1ELi2EEEES20_S21_S22_S22_S23_S22_S24_NST_IJLi0ELi1ELi2ELi3ELi4ELi5EEEELi5ELi4EEEDF16_NS5_IJPKDF16_EEEDF16_S8_S8_S9_NSB_INS5_IJSE_SG_SI_SI_SI_SG_SG_SK_SK_SK_SG_SN_SN_SP_SP_SR_SG_SG_NSQ_INS5_IJiNS_17integral_constantIiLi128EEEEEELb0EEENSF_INS2A_IiLi2EEEEEEEENS5_IJSU_SV_SW_SX_SY_SZ_S10_S11_S12_S13_S14_S15_S16_S17_S18_S19_S1A_NST_IJLi23EEEES1J_NST_IJLi24EEEEEEENS5_IJS1C_S10_S11_S12_S13_S14_S1D_S1E_S1F_S1G_S1H_S17_S18_S1A_S19_S1I_S1J_NST_IJLi26EEEENST_IJLi27ELi28EEEENST_IJLi29EEEEEEENST_IJLi26ELi27ELi28ELi29EEEElEENSB_INS5_IJSR_SP_SP_SR_SG_SG_S2D_S2F_EEENS5_IJSU_SV_SW_SY_SX_SZ_S11_S10_EEENS5_IJS1P_SX_SY_S1Q_S11_S12_NST_IJLi9ELi10EEEES1D_EEENST_IJLi8ELi9ELi10ELi11EEEElEENS5_IJNSB_INS5_IJSK_SP_SP_NSQ_INS5_IJiS2E_NS2A_IiLi64EEEEEELb0EEES2Y_EEENS5_IJSU_SV_SW_SX_SY_EEENS5_IJS1P_SX_SY_NST_IJLi5ELi6ELi7EEEENST_IJLi8ELi9ELi10EEEEEEENST_IJLi5ELi6ELi7ELi8ELi9ELi10EEEElEEEEES35_NS_31BlockToCTileMap_M00_N00_M01_N01ILi128ELi128ES1Y_Lb0EEENS1_30ComputePtrOffsetOfStridedBatchILi1ELi1ELi1EvEELb1ELb0EEEvPKT0_S3D_T1_PT2_T3_T4_T5_iT6_T7_T8_T9_T10_T11_,"axG",@progbits,_ZN2ck16tensor_operation6device12_GLOBAL__N_137kernel_grouped_conv_fwd_dl_multiple_dINS_32GridwiseGemmDlMultipleD_km_kn_mnILi256EDF16_fNS_5TupleIJDF16_EEEDF16_NS0_12element_wise11PassThroughES8_NS7_7AddReluELNS_25InMemoryDataOperationEnumE0ENS_16TensorDescriptorINS5_IJNS_5EmbedINS5_IJiiiiiEEESD_Lb0EEENS_11PassThroughIiEENS_3PadIiiiLb0EEESI_SI_SG_SG_NSC_INS5_IJiiEEESJ_Lb0EEESK_SK_SG_NS_23Merge_v2_magic_divisionINS5_IJiiiiEEEEESN_NS_8RightPadIiiLb0EEESP_NS_7UnMergeISJ_Lb0EEESG_EEENS5_IJNS_8SequenceIJLi0EEEENST_IJLi1EEEENST_IJLi2EEEENST_IJLi3EEEENST_IJLi4EEEENST_IJLi5EEEENST_IJLi6EEEENST_IJLi7EEEENST_IJLi8EEEENST_IJLi9EEEENST_IJLi10EEEENST_IJLi11ELi13ELi15ELi17EEEENST_IJLi12ELi14ELi16ELi18EEEENST_IJLi19EEEENST_IJLi20EEEENST_IJLi22EEEENST_IJLi21EEEEEEENS5_IJNST_IJLi1ELi2ELi3ELi4ELi5EEEES10_S11_S12_S13_S14_NST_IJLi11EEEENST_IJLi12ELi13EEEENST_IJLi14ELi15EEEENST_IJLi16ELi17EEEENST_IJLi18EEEES17_S18_S1A_S19_NST_IJLi23ELi24EEEENST_IJLi25EEEEEEENST_IJLi23ELi25ELi24EEEElEENSB_INS5_IJSR_SP_SP_SR_SG_EEENS5_IJSU_SV_SW_SY_SX_EEENS5_IJNST_IJLi1ELi2EEEESX_SY_NST_IJLi5ELi6EEEES11_EEENST_IJLi5ELi7ELi6EEEElEENSB_INS5_IJSK_SP_SP_EEENS5_IJSU_SV_SW_EEENS5_IJS1P_SX_SY_EEENST_IJLi3ELi4EEEElEELi128ELi128ELi16ELi2ELi4ELi4ELi1ENST_IJLi8ELi2EEEES1Z_NST_IJLi8ELi1ELi1ELi2EEEENST_IJLi2ELi1ELi128ELi1EEEENST_IJLi1ELi2ELi0ELi3EEEES22_NST_IJLi4ELi1ELi1ELi2EEEES22_NST_IJLi1ELi1ELi1ELi2EEEES20_S21_S22_S22_S23_S22_S24_NST_IJLi0ELi1ELi2ELi3ELi4ELi5EEEELi5ELi4EEEDF16_NS5_IJPKDF16_EEEDF16_S8_S8_S9_NSB_INS5_IJSE_SG_SI_SI_SI_SG_SG_SK_SK_SK_SG_SN_SN_SP_SP_SR_SG_SG_NSQ_INS5_IJiNS_17integral_constantIiLi128EEEEEELb0EEENSF_INS2A_IiLi2EEEEEEEENS5_IJSU_SV_SW_SX_SY_SZ_S10_S11_S12_S13_S14_S15_S16_S17_S18_S19_S1A_NST_IJLi23EEEES1J_NST_IJLi24EEEEEEENS5_IJS1C_S10_S11_S12_S13_S14_S1D_S1E_S1F_S1G_S1H_S17_S18_S1A_S19_S1I_S1J_NST_IJLi26EEEENST_IJLi27ELi28EEEENST_IJLi29EEEEEEENST_IJLi26ELi27ELi28ELi29EEEElEENSB_INS5_IJSR_SP_SP_SR_SG_SG_S2D_S2F_EEENS5_IJSU_SV_SW_SY_SX_SZ_S11_S10_EEENS5_IJS1P_SX_SY_S1Q_S11_S12_NST_IJLi9ELi10EEEES1D_EEENST_IJLi8ELi9ELi10ELi11EEEElEENS5_IJNSB_INS5_IJSK_SP_SP_NSQ_INS5_IJiS2E_NS2A_IiLi64EEEEEELb0EEES2Y_EEENS5_IJSU_SV_SW_SX_SY_EEENS5_IJS1P_SX_SY_NST_IJLi5ELi6ELi7EEEENST_IJLi8ELi9ELi10EEEEEEENST_IJLi5ELi6ELi7ELi8ELi9ELi10EEEElEEEEES35_NS_31BlockToCTileMap_M00_N00_M01_N01ILi128ELi128ES1Y_Lb0EEENS1_30ComputePtrOffsetOfStridedBatchILi1ELi1ELi1EvEELb1ELb0EEEvPKT0_S3D_T1_PT2_T3_T4_T5_iT6_T7_T8_T9_T10_T11_,comdat
	.globl	_ZN2ck16tensor_operation6device12_GLOBAL__N_137kernel_grouped_conv_fwd_dl_multiple_dINS_32GridwiseGemmDlMultipleD_km_kn_mnILi256EDF16_fNS_5TupleIJDF16_EEEDF16_NS0_12element_wise11PassThroughES8_NS7_7AddReluELNS_25InMemoryDataOperationEnumE0ENS_16TensorDescriptorINS5_IJNS_5EmbedINS5_IJiiiiiEEESD_Lb0EEENS_11PassThroughIiEENS_3PadIiiiLb0EEESI_SI_SG_SG_NSC_INS5_IJiiEEESJ_Lb0EEESK_SK_SG_NS_23Merge_v2_magic_divisionINS5_IJiiiiEEEEESN_NS_8RightPadIiiLb0EEESP_NS_7UnMergeISJ_Lb0EEESG_EEENS5_IJNS_8SequenceIJLi0EEEENST_IJLi1EEEENST_IJLi2EEEENST_IJLi3EEEENST_IJLi4EEEENST_IJLi5EEEENST_IJLi6EEEENST_IJLi7EEEENST_IJLi8EEEENST_IJLi9EEEENST_IJLi10EEEENST_IJLi11ELi13ELi15ELi17EEEENST_IJLi12ELi14ELi16ELi18EEEENST_IJLi19EEEENST_IJLi20EEEENST_IJLi22EEEENST_IJLi21EEEEEEENS5_IJNST_IJLi1ELi2ELi3ELi4ELi5EEEES10_S11_S12_S13_S14_NST_IJLi11EEEENST_IJLi12ELi13EEEENST_IJLi14ELi15EEEENST_IJLi16ELi17EEEENST_IJLi18EEEES17_S18_S1A_S19_NST_IJLi23ELi24EEEENST_IJLi25EEEEEEENST_IJLi23ELi25ELi24EEEElEENSB_INS5_IJSR_SP_SP_SR_SG_EEENS5_IJSU_SV_SW_SY_SX_EEENS5_IJNST_IJLi1ELi2EEEESX_SY_NST_IJLi5ELi6EEEES11_EEENST_IJLi5ELi7ELi6EEEElEENSB_INS5_IJSK_SP_SP_EEENS5_IJSU_SV_SW_EEENS5_IJS1P_SX_SY_EEENST_IJLi3ELi4EEEElEELi128ELi128ELi16ELi2ELi4ELi4ELi1ENST_IJLi8ELi2EEEES1Z_NST_IJLi8ELi1ELi1ELi2EEEENST_IJLi2ELi1ELi128ELi1EEEENST_IJLi1ELi2ELi0ELi3EEEES22_NST_IJLi4ELi1ELi1ELi2EEEES22_NST_IJLi1ELi1ELi1ELi2EEEES20_S21_S22_S22_S23_S22_S24_NST_IJLi0ELi1ELi2ELi3ELi4ELi5EEEELi5ELi4EEEDF16_NS5_IJPKDF16_EEEDF16_S8_S8_S9_NSB_INS5_IJSE_SG_SI_SI_SI_SG_SG_SK_SK_SK_SG_SN_SN_SP_SP_SR_SG_SG_NSQ_INS5_IJiNS_17integral_constantIiLi128EEEEEELb0EEENSF_INS2A_IiLi2EEEEEEEENS5_IJSU_SV_SW_SX_SY_SZ_S10_S11_S12_S13_S14_S15_S16_S17_S18_S19_S1A_NST_IJLi23EEEES1J_NST_IJLi24EEEEEEENS5_IJS1C_S10_S11_S12_S13_S14_S1D_S1E_S1F_S1G_S1H_S17_S18_S1A_S19_S1I_S1J_NST_IJLi26EEEENST_IJLi27ELi28EEEENST_IJLi29EEEEEEENST_IJLi26ELi27ELi28ELi29EEEElEENSB_INS5_IJSR_SP_SP_SR_SG_SG_S2D_S2F_EEENS5_IJSU_SV_SW_SY_SX_SZ_S11_S10_EEENS5_IJS1P_SX_SY_S1Q_S11_S12_NST_IJLi9ELi10EEEES1D_EEENST_IJLi8ELi9ELi10ELi11EEEElEENS5_IJNSB_INS5_IJSK_SP_SP_NSQ_INS5_IJiS2E_NS2A_IiLi64EEEEEELb0EEES2Y_EEENS5_IJSU_SV_SW_SX_SY_EEENS5_IJS1P_SX_SY_NST_IJLi5ELi6ELi7EEEENST_IJLi8ELi9ELi10EEEEEEENST_IJLi5ELi6ELi7ELi8ELi9ELi10EEEElEEEEES35_NS_31BlockToCTileMap_M00_N00_M01_N01ILi128ELi128ES1Y_Lb0EEENS1_30ComputePtrOffsetOfStridedBatchILi1ELi1ELi1EvEELb1ELb0EEEvPKT0_S3D_T1_PT2_T3_T4_T5_iT6_T7_T8_T9_T10_T11_ ; -- Begin function _ZN2ck16tensor_operation6device12_GLOBAL__N_137kernel_grouped_conv_fwd_dl_multiple_dINS_32GridwiseGemmDlMultipleD_km_kn_mnILi256EDF16_fNS_5TupleIJDF16_EEEDF16_NS0_12element_wise11PassThroughES8_NS7_7AddReluELNS_25InMemoryDataOperationEnumE0ENS_16TensorDescriptorINS5_IJNS_5EmbedINS5_IJiiiiiEEESD_Lb0EEENS_11PassThroughIiEENS_3PadIiiiLb0EEESI_SI_SG_SG_NSC_INS5_IJiiEEESJ_Lb0EEESK_SK_SG_NS_23Merge_v2_magic_divisionINS5_IJiiiiEEEEESN_NS_8RightPadIiiLb0EEESP_NS_7UnMergeISJ_Lb0EEESG_EEENS5_IJNS_8SequenceIJLi0EEEENST_IJLi1EEEENST_IJLi2EEEENST_IJLi3EEEENST_IJLi4EEEENST_IJLi5EEEENST_IJLi6EEEENST_IJLi7EEEENST_IJLi8EEEENST_IJLi9EEEENST_IJLi10EEEENST_IJLi11ELi13ELi15ELi17EEEENST_IJLi12ELi14ELi16ELi18EEEENST_IJLi19EEEENST_IJLi20EEEENST_IJLi22EEEENST_IJLi21EEEEEEENS5_IJNST_IJLi1ELi2ELi3ELi4ELi5EEEES10_S11_S12_S13_S14_NST_IJLi11EEEENST_IJLi12ELi13EEEENST_IJLi14ELi15EEEENST_IJLi16ELi17EEEENST_IJLi18EEEES17_S18_S1A_S19_NST_IJLi23ELi24EEEENST_IJLi25EEEEEEENST_IJLi23ELi25ELi24EEEElEENSB_INS5_IJSR_SP_SP_SR_SG_EEENS5_IJSU_SV_SW_SY_SX_EEENS5_IJNST_IJLi1ELi2EEEESX_SY_NST_IJLi5ELi6EEEES11_EEENST_IJLi5ELi7ELi6EEEElEENSB_INS5_IJSK_SP_SP_EEENS5_IJSU_SV_SW_EEENS5_IJS1P_SX_SY_EEENST_IJLi3ELi4EEEElEELi128ELi128ELi16ELi2ELi4ELi4ELi1ENST_IJLi8ELi2EEEES1Z_NST_IJLi8ELi1ELi1ELi2EEEENST_IJLi2ELi1ELi128ELi1EEEENST_IJLi1ELi2ELi0ELi3EEEES22_NST_IJLi4ELi1ELi1ELi2EEEES22_NST_IJLi1ELi1ELi1ELi2EEEES20_S21_S22_S22_S23_S22_S24_NST_IJLi0ELi1ELi2ELi3ELi4ELi5EEEELi5ELi4EEEDF16_NS5_IJPKDF16_EEEDF16_S8_S8_S9_NSB_INS5_IJSE_SG_SI_SI_SI_SG_SG_SK_SK_SK_SG_SN_SN_SP_SP_SR_SG_SG_NSQ_INS5_IJiNS_17integral_constantIiLi128EEEEEELb0EEENSF_INS2A_IiLi2EEEEEEEENS5_IJSU_SV_SW_SX_SY_SZ_S10_S11_S12_S13_S14_S15_S16_S17_S18_S19_S1A_NST_IJLi23EEEES1J_NST_IJLi24EEEEEEENS5_IJS1C_S10_S11_S12_S13_S14_S1D_S1E_S1F_S1G_S1H_S17_S18_S1A_S19_S1I_S1J_NST_IJLi26EEEENST_IJLi27ELi28EEEENST_IJLi29EEEEEEENST_IJLi26ELi27ELi28ELi29EEEElEENSB_INS5_IJSR_SP_SP_SR_SG_SG_S2D_S2F_EEENS5_IJSU_SV_SW_SY_SX_SZ_S11_S10_EEENS5_IJS1P_SX_SY_S1Q_S11_S12_NST_IJLi9ELi10EEEES1D_EEENST_IJLi8ELi9ELi10ELi11EEEElEENS5_IJNSB_INS5_IJSK_SP_SP_NSQ_INS5_IJiS2E_NS2A_IiLi64EEEEEELb0EEES2Y_EEENS5_IJSU_SV_SW_SX_SY_EEENS5_IJS1P_SX_SY_NST_IJLi5ELi6ELi7EEEENST_IJLi8ELi9ELi10EEEEEEENST_IJLi5ELi6ELi7ELi8ELi9ELi10EEEElEEEEES35_NS_31BlockToCTileMap_M00_N00_M01_N01ILi128ELi128ES1Y_Lb0EEENS1_30ComputePtrOffsetOfStridedBatchILi1ELi1ELi1EvEELb1ELb0EEEvPKT0_S3D_T1_PT2_T3_T4_T5_iT6_T7_T8_T9_T10_T11_
	.p2align	8
	.type	_ZN2ck16tensor_operation6device12_GLOBAL__N_137kernel_grouped_conv_fwd_dl_multiple_dINS_32GridwiseGemmDlMultipleD_km_kn_mnILi256EDF16_fNS_5TupleIJDF16_EEEDF16_NS0_12element_wise11PassThroughES8_NS7_7AddReluELNS_25InMemoryDataOperationEnumE0ENS_16TensorDescriptorINS5_IJNS_5EmbedINS5_IJiiiiiEEESD_Lb0EEENS_11PassThroughIiEENS_3PadIiiiLb0EEESI_SI_SG_SG_NSC_INS5_IJiiEEESJ_Lb0EEESK_SK_SG_NS_23Merge_v2_magic_divisionINS5_IJiiiiEEEEESN_NS_8RightPadIiiLb0EEESP_NS_7UnMergeISJ_Lb0EEESG_EEENS5_IJNS_8SequenceIJLi0EEEENST_IJLi1EEEENST_IJLi2EEEENST_IJLi3EEEENST_IJLi4EEEENST_IJLi5EEEENST_IJLi6EEEENST_IJLi7EEEENST_IJLi8EEEENST_IJLi9EEEENST_IJLi10EEEENST_IJLi11ELi13ELi15ELi17EEEENST_IJLi12ELi14ELi16ELi18EEEENST_IJLi19EEEENST_IJLi20EEEENST_IJLi22EEEENST_IJLi21EEEEEEENS5_IJNST_IJLi1ELi2ELi3ELi4ELi5EEEES10_S11_S12_S13_S14_NST_IJLi11EEEENST_IJLi12ELi13EEEENST_IJLi14ELi15EEEENST_IJLi16ELi17EEEENST_IJLi18EEEES17_S18_S1A_S19_NST_IJLi23ELi24EEEENST_IJLi25EEEEEEENST_IJLi23ELi25ELi24EEEElEENSB_INS5_IJSR_SP_SP_SR_SG_EEENS5_IJSU_SV_SW_SY_SX_EEENS5_IJNST_IJLi1ELi2EEEESX_SY_NST_IJLi5ELi6EEEES11_EEENST_IJLi5ELi7ELi6EEEElEENSB_INS5_IJSK_SP_SP_EEENS5_IJSU_SV_SW_EEENS5_IJS1P_SX_SY_EEENST_IJLi3ELi4EEEElEELi128ELi128ELi16ELi2ELi4ELi4ELi1ENST_IJLi8ELi2EEEES1Z_NST_IJLi8ELi1ELi1ELi2EEEENST_IJLi2ELi1ELi128ELi1EEEENST_IJLi1ELi2ELi0ELi3EEEES22_NST_IJLi4ELi1ELi1ELi2EEEES22_NST_IJLi1ELi1ELi1ELi2EEEES20_S21_S22_S22_S23_S22_S24_NST_IJLi0ELi1ELi2ELi3ELi4ELi5EEEELi5ELi4EEEDF16_NS5_IJPKDF16_EEEDF16_S8_S8_S9_NSB_INS5_IJSE_SG_SI_SI_SI_SG_SG_SK_SK_SK_SG_SN_SN_SP_SP_SR_SG_SG_NSQ_INS5_IJiNS_17integral_constantIiLi128EEEEEELb0EEENSF_INS2A_IiLi2EEEEEEEENS5_IJSU_SV_SW_SX_SY_SZ_S10_S11_S12_S13_S14_S15_S16_S17_S18_S19_S1A_NST_IJLi23EEEES1J_NST_IJLi24EEEEEEENS5_IJS1C_S10_S11_S12_S13_S14_S1D_S1E_S1F_S1G_S1H_S17_S18_S1A_S19_S1I_S1J_NST_IJLi26EEEENST_IJLi27ELi28EEEENST_IJLi29EEEEEEENST_IJLi26ELi27ELi28ELi29EEEElEENSB_INS5_IJSR_SP_SP_SR_SG_SG_S2D_S2F_EEENS5_IJSU_SV_SW_SY_SX_SZ_S11_S10_EEENS5_IJS1P_SX_SY_S1Q_S11_S12_NST_IJLi9ELi10EEEES1D_EEENST_IJLi8ELi9ELi10ELi11EEEElEENS5_IJNSB_INS5_IJSK_SP_SP_NSQ_INS5_IJiS2E_NS2A_IiLi64EEEEEELb0EEES2Y_EEENS5_IJSU_SV_SW_SX_SY_EEENS5_IJS1P_SX_SY_NST_IJLi5ELi6ELi7EEEENST_IJLi8ELi9ELi10EEEEEEENST_IJLi5ELi6ELi7ELi8ELi9ELi10EEEElEEEEES35_NS_31BlockToCTileMap_M00_N00_M01_N01ILi128ELi128ES1Y_Lb0EEENS1_30ComputePtrOffsetOfStridedBatchILi1ELi1ELi1EvEELb1ELb0EEEvPKT0_S3D_T1_PT2_T3_T4_T5_iT6_T7_T8_T9_T10_T11_,@function
_ZN2ck16tensor_operation6device12_GLOBAL__N_137kernel_grouped_conv_fwd_dl_multiple_dINS_32GridwiseGemmDlMultipleD_km_kn_mnILi256EDF16_fNS_5TupleIJDF16_EEEDF16_NS0_12element_wise11PassThroughES8_NS7_7AddReluELNS_25InMemoryDataOperationEnumE0ENS_16TensorDescriptorINS5_IJNS_5EmbedINS5_IJiiiiiEEESD_Lb0EEENS_11PassThroughIiEENS_3PadIiiiLb0EEESI_SI_SG_SG_NSC_INS5_IJiiEEESJ_Lb0EEESK_SK_SG_NS_23Merge_v2_magic_divisionINS5_IJiiiiEEEEESN_NS_8RightPadIiiLb0EEESP_NS_7UnMergeISJ_Lb0EEESG_EEENS5_IJNS_8SequenceIJLi0EEEENST_IJLi1EEEENST_IJLi2EEEENST_IJLi3EEEENST_IJLi4EEEENST_IJLi5EEEENST_IJLi6EEEENST_IJLi7EEEENST_IJLi8EEEENST_IJLi9EEEENST_IJLi10EEEENST_IJLi11ELi13ELi15ELi17EEEENST_IJLi12ELi14ELi16ELi18EEEENST_IJLi19EEEENST_IJLi20EEEENST_IJLi22EEEENST_IJLi21EEEEEEENS5_IJNST_IJLi1ELi2ELi3ELi4ELi5EEEES10_S11_S12_S13_S14_NST_IJLi11EEEENST_IJLi12ELi13EEEENST_IJLi14ELi15EEEENST_IJLi16ELi17EEEENST_IJLi18EEEES17_S18_S1A_S19_NST_IJLi23ELi24EEEENST_IJLi25EEEEEEENST_IJLi23ELi25ELi24EEEElEENSB_INS5_IJSR_SP_SP_SR_SG_EEENS5_IJSU_SV_SW_SY_SX_EEENS5_IJNST_IJLi1ELi2EEEESX_SY_NST_IJLi5ELi6EEEES11_EEENST_IJLi5ELi7ELi6EEEElEENSB_INS5_IJSK_SP_SP_EEENS5_IJSU_SV_SW_EEENS5_IJS1P_SX_SY_EEENST_IJLi3ELi4EEEElEELi128ELi128ELi16ELi2ELi4ELi4ELi1ENST_IJLi8ELi2EEEES1Z_NST_IJLi8ELi1ELi1ELi2EEEENST_IJLi2ELi1ELi128ELi1EEEENST_IJLi1ELi2ELi0ELi3EEEES22_NST_IJLi4ELi1ELi1ELi2EEEES22_NST_IJLi1ELi1ELi1ELi2EEEES20_S21_S22_S22_S23_S22_S24_NST_IJLi0ELi1ELi2ELi3ELi4ELi5EEEELi5ELi4EEEDF16_NS5_IJPKDF16_EEEDF16_S8_S8_S9_NSB_INS5_IJSE_SG_SI_SI_SI_SG_SG_SK_SK_SK_SG_SN_SN_SP_SP_SR_SG_SG_NSQ_INS5_IJiNS_17integral_constantIiLi128EEEEEELb0EEENSF_INS2A_IiLi2EEEEEEEENS5_IJSU_SV_SW_SX_SY_SZ_S10_S11_S12_S13_S14_S15_S16_S17_S18_S19_S1A_NST_IJLi23EEEES1J_NST_IJLi24EEEEEEENS5_IJS1C_S10_S11_S12_S13_S14_S1D_S1E_S1F_S1G_S1H_S17_S18_S1A_S19_S1I_S1J_NST_IJLi26EEEENST_IJLi27ELi28EEEENST_IJLi29EEEEEEENST_IJLi26ELi27ELi28ELi29EEEElEENSB_INS5_IJSR_SP_SP_SR_SG_SG_S2D_S2F_EEENS5_IJSU_SV_SW_SY_SX_SZ_S11_S10_EEENS5_IJS1P_SX_SY_S1Q_S11_S12_NST_IJLi9ELi10EEEES1D_EEENST_IJLi8ELi9ELi10ELi11EEEElEENS5_IJNSB_INS5_IJSK_SP_SP_NSQ_INS5_IJiS2E_NS2A_IiLi64EEEEEELb0EEES2Y_EEENS5_IJSU_SV_SW_SX_SY_EEENS5_IJS1P_SX_SY_NST_IJLi5ELi6ELi7EEEENST_IJLi8ELi9ELi10EEEEEEENST_IJLi5ELi6ELi7ELi8ELi9ELi10EEEElEEEEES35_NS_31BlockToCTileMap_M00_N00_M01_N01ILi128ELi128ES1Y_Lb0EEENS1_30ComputePtrOffsetOfStridedBatchILi1ELi1ELi1EvEELb1ELb0EEEvPKT0_S3D_T1_PT2_T3_T4_T5_iT6_T7_T8_T9_T10_T11_: ; @_ZN2ck16tensor_operation6device12_GLOBAL__N_137kernel_grouped_conv_fwd_dl_multiple_dINS_32GridwiseGemmDlMultipleD_km_kn_mnILi256EDF16_fNS_5TupleIJDF16_EEEDF16_NS0_12element_wise11PassThroughES8_NS7_7AddReluELNS_25InMemoryDataOperationEnumE0ENS_16TensorDescriptorINS5_IJNS_5EmbedINS5_IJiiiiiEEESD_Lb0EEENS_11PassThroughIiEENS_3PadIiiiLb0EEESI_SI_SG_SG_NSC_INS5_IJiiEEESJ_Lb0EEESK_SK_SG_NS_23Merge_v2_magic_divisionINS5_IJiiiiEEEEESN_NS_8RightPadIiiLb0EEESP_NS_7UnMergeISJ_Lb0EEESG_EEENS5_IJNS_8SequenceIJLi0EEEENST_IJLi1EEEENST_IJLi2EEEENST_IJLi3EEEENST_IJLi4EEEENST_IJLi5EEEENST_IJLi6EEEENST_IJLi7EEEENST_IJLi8EEEENST_IJLi9EEEENST_IJLi10EEEENST_IJLi11ELi13ELi15ELi17EEEENST_IJLi12ELi14ELi16ELi18EEEENST_IJLi19EEEENST_IJLi20EEEENST_IJLi22EEEENST_IJLi21EEEEEEENS5_IJNST_IJLi1ELi2ELi3ELi4ELi5EEEES10_S11_S12_S13_S14_NST_IJLi11EEEENST_IJLi12ELi13EEEENST_IJLi14ELi15EEEENST_IJLi16ELi17EEEENST_IJLi18EEEES17_S18_S1A_S19_NST_IJLi23ELi24EEEENST_IJLi25EEEEEEENST_IJLi23ELi25ELi24EEEElEENSB_INS5_IJSR_SP_SP_SR_SG_EEENS5_IJSU_SV_SW_SY_SX_EEENS5_IJNST_IJLi1ELi2EEEESX_SY_NST_IJLi5ELi6EEEES11_EEENST_IJLi5ELi7ELi6EEEElEENSB_INS5_IJSK_SP_SP_EEENS5_IJSU_SV_SW_EEENS5_IJS1P_SX_SY_EEENST_IJLi3ELi4EEEElEELi128ELi128ELi16ELi2ELi4ELi4ELi1ENST_IJLi8ELi2EEEES1Z_NST_IJLi8ELi1ELi1ELi2EEEENST_IJLi2ELi1ELi128ELi1EEEENST_IJLi1ELi2ELi0ELi3EEEES22_NST_IJLi4ELi1ELi1ELi2EEEES22_NST_IJLi1ELi1ELi1ELi2EEEES20_S21_S22_S22_S23_S22_S24_NST_IJLi0ELi1ELi2ELi3ELi4ELi5EEEELi5ELi4EEEDF16_NS5_IJPKDF16_EEEDF16_S8_S8_S9_NSB_INS5_IJSE_SG_SI_SI_SI_SG_SG_SK_SK_SK_SG_SN_SN_SP_SP_SR_SG_SG_NSQ_INS5_IJiNS_17integral_constantIiLi128EEEEEELb0EEENSF_INS2A_IiLi2EEEEEEEENS5_IJSU_SV_SW_SX_SY_SZ_S10_S11_S12_S13_S14_S15_S16_S17_S18_S19_S1A_NST_IJLi23EEEES1J_NST_IJLi24EEEEEEENS5_IJS1C_S10_S11_S12_S13_S14_S1D_S1E_S1F_S1G_S1H_S17_S18_S1A_S19_S1I_S1J_NST_IJLi26EEEENST_IJLi27ELi28EEEENST_IJLi29EEEEEEENST_IJLi26ELi27ELi28ELi29EEEElEENSB_INS5_IJSR_SP_SP_SR_SG_SG_S2D_S2F_EEENS5_IJSU_SV_SW_SY_SX_SZ_S11_S10_EEENS5_IJS1P_SX_SY_S1Q_S11_S12_NST_IJLi9ELi10EEEES1D_EEENST_IJLi8ELi9ELi10ELi11EEEElEENS5_IJNSB_INS5_IJSK_SP_SP_NSQ_INS5_IJiS2E_NS2A_IiLi64EEEEEELb0EEES2Y_EEENS5_IJSU_SV_SW_SX_SY_EEENS5_IJS1P_SX_SY_NST_IJLi5ELi6ELi7EEEENST_IJLi8ELi9ELi10EEEEEEENST_IJLi5ELi6ELi7ELi8ELi9ELi10EEEElEEEEES35_NS_31BlockToCTileMap_M00_N00_M01_N01ILi128ELi128ES1Y_Lb0EEENS1_30ComputePtrOffsetOfStridedBatchILi1ELi1ELi1EvEELb1ELb0EEEvPKT0_S3D_T1_PT2_T3_T4_T5_iT6_T7_T8_T9_T10_T11_
; %bb.0:
	s_clause 0x5
	s_load_b32 s2, s[0:1], 0x24
	s_load_b128 s[44:47], s[0:1], 0x3c
	s_load_b32 s68, s[0:1], 0x4c
	s_load_b32 s4, s[0:1], 0x300
	s_load_b256 s[16:23], s[0:1], 0x2d8
	s_load_b128 s[40:43], s[0:1], 0x2c0
	v_lshrrev_b32_e32 v7, 1, v0
	v_mov_b32_e32 v55, 0
	v_mov_b32_e32 v53, 0
	v_dual_mov_b32 v57, 0 :: v_dual_mov_b32 v60, 0
	v_mov_b32_e32 v23, 0
	v_dual_mov_b32 v59, 0 :: v_dual_mov_b32 v62, 0
	v_dual_mov_b32 v19, 0 :: v_dual_mov_b32 v34, 0
	;; [unrolled: 1-line block ×4, first 2 shown]
	s_waitcnt lgkmcnt(0)
	s_abs_i32 s3, s2
	v_dual_mov_b32 v35, 0 :: v_dual_mov_b32 v36, 0
	v_cvt_f32_u32_e32 v1, s3
	s_sub_i32 s6, 0, s3
	s_abs_i32 s7, s4
	s_xor_b32 s2, s4, s2
	v_dual_mov_b32 v65, 0 :: v_dual_mov_b32 v68, 0
	v_rcp_iflag_f32_e32 v1, v1
	s_ashr_i32 s2, s2, 31
	v_dual_mov_b32 v31, 0 :: v_dual_mov_b32 v38, 0
	v_dual_mov_b32 v67, 0 :: v_dual_mov_b32 v70, 0
	;; [unrolled: 1-line block ×4, first 2 shown]
	s_waitcnt_depctr 0xfff
	v_mul_f32_e32 v1, 0x4f7ffffe, v1
	v_dual_mov_b32 v39, 0 :: v_dual_mov_b32 v40, 0
	v_dual_mov_b32 v71, 0 :: v_dual_mov_b32 v74, 0
	s_delay_alu instid0(VALU_DEP_3) | instskip(SKIP_2) | instid1(VALU_DEP_3)
	v_cvt_u32_f32_e32 v1, v1
	v_dual_mov_b32 v43, 0 :: v_dual_mov_b32 v44, 0
	v_dual_mov_b32 v73, 0 :: v_dual_mov_b32 v76, 0
	v_readfirstlane_b32 s5, v1
	v_dual_mov_b32 v41, 0 :: v_dual_mov_b32 v50, 0
	v_dual_mov_b32 v75, 0 :: v_dual_mov_b32 v78, 0
	s_delay_alu instid0(VALU_DEP_3)
	s_mul_i32 s6, s6, s5
	v_dual_mov_b32 v45, 0 :: v_dual_mov_b32 v54, 0
	s_mul_hi_u32 s6, s5, s6
	v_dual_mov_b32 v77, 0 :: v_dual_mov_b32 v32, 0
	s_add_i32 s5, s5, s6
	v_dual_mov_b32 v49, 0 :: v_dual_mov_b32 v56, 0
	s_mul_hi_u32 s5, s7, s5
	v_dual_mov_b32 v79, 0 :: v_dual_mov_b32 v28, 0
	s_mul_i32 s4, s5, s3
	s_add_i32 s6, s5, 1
	s_sub_i32 s4, s7, s4
	v_mov_b32_e32 v46, 0
	s_sub_i32 s7, s4, s3
	s_cmp_ge_u32 s4, s3
	v_mov_b32_e32 v27, 0
	s_cselect_b32 s5, s6, s5
	s_cselect_b32 s4, s7, s4
	s_add_i32 s6, s5, 1
	s_cmp_ge_u32 s4, s3
	v_mov_b32_e32 v26, 0
	s_cselect_b32 s3, s6, s5
	s_abs_i32 s11, s15
	s_xor_b32 s3, s3, s2
	s_clause 0x2
	s_load_b128 s[4:7], s[0:1], 0x0
	s_load_b64 s[60:61], s[0:1], 0x18
	s_load_b256 s[24:31], s[0:1], 0xec
	s_sub_i32 s3, s3, s2
	s_clause 0x1
	s_load_b128 s[52:55], s[0:1], 0x298
	s_load_b128 s[36:39], s[0:1], 0x2ac
	s_abs_i32 s8, s3
	s_xor_b32 s3, s15, s3
	v_cvt_f32_u32_e32 v1, s8
	s_sub_i32 s10, 0, s8
	s_ashr_i32 s3, s3, 31
	s_clause 0x2
	s_load_b32 s2, s[0:1], 0x13c
	s_load_b32 s73, s[0:1], 0x120
	s_load_b32 s71, s[0:1], 0x12c
	v_rcp_iflag_f32_e32 v1, v1
	v_mov_b32_e32 v48, 0
	v_mov_b32_e32 v24, 0
	v_mov_b32_e32 v52, 0
	v_dual_mov_b32 v20, 0 :: v_dual_mov_b32 v47, 0
	v_dual_mov_b32 v25, 0 :: v_dual_mov_b32 v30, 0
	;; [unrolled: 1-line block ×3, first 2 shown]
	s_delay_alu instid0(TRANS32_DEP_1) | instskip(SKIP_3) | instid1(VALU_DEP_2)
	v_dual_mul_f32 v1, 0x4f7ffffe, v1 :: v_dual_mov_b32 v58, 0
	s_waitcnt lgkmcnt(0)
	s_mul_hi_u32 s14, s39, s15
	v_mov_b32_e32 v21, 0
	v_cvt_u32_f32_e32 v1, v1
	s_delay_alu instid0(VALU_DEP_1) | instskip(SKIP_1) | instid1(VALU_DEP_2)
	v_readfirstlane_b32 s9, v1
	v_lshlrev_b32_e32 v1, 3, v0
	s_mul_i32 s10, s10, s9
	s_delay_alu instid0(VALU_DEP_1) | instskip(SKIP_1) | instid1(SALU_CYCLE_1)
	v_and_b32_e32 v6, 8, v1
	s_mul_hi_u32 s10, s9, s10
	s_add_i32 s9, s9, s10
	s_delay_alu instid0(SALU_CYCLE_1) | instskip(NEXT) | instid1(VALU_DEP_1)
	s_mul_hi_u32 s9, s11, s9
	v_or_b32_e32 v1, 4, v6
	s_mul_i32 s10, s9, s8
	s_delay_alu instid0(SALU_CYCLE_1)
	s_sub_i32 s10, s11, s10
	s_add_i32 s11, s9, 1
	s_sub_i32 s12, s10, s8
	s_cmp_ge_u32 s10, s8
	s_cselect_b32 s9, s11, s9
	s_cselect_b32 s10, s12, s10
	s_add_i32 s11, s9, 1
	s_cmp_ge_u32 s10, s8
	s_cselect_b32 s8, s11, s9
	s_delay_alu instid0(SALU_CYCLE_1) | instskip(NEXT) | instid1(SALU_CYCLE_1)
	s_xor_b32 s8, s8, s3
	s_sub_i32 s69, s8, s3
	s_delay_alu instid0(SALU_CYCLE_1)
	s_ashr_i32 s70, s69, 31
	s_mul_hi_u32 s3, s16, s69
	s_mul_i32 s8, s16, s69
	s_mul_i32 s16, s16, s70
	;; [unrolled: 1-line block ×3, first 2 shown]
	s_add_i32 s3, s3, s16
	s_mul_hi_u32 s11, s18, s69
	s_mul_i32 s12, s19, s69
	s_mul_i32 s10, s18, s69
	s_mul_hi_u32 s13, s22, s69
	s_mul_i32 s18, s18, s70
	s_mul_i32 s19, s22, s70
	s_add_i32 s9, s3, s9
	s_mul_i32 s17, s23, s69
	s_add_i32 s11, s11, s18
	s_add_i32 s13, s13, s19
	s_lshl_b64 s[8:9], s[8:9], 1
	s_add_i32 s11, s11, s12
	s_add_i32 s23, s13, s17
	s_add_u32 s16, s4, s8
	s_addc_u32 s17, s5, s9
	s_lshl_b64 s[4:5], s[10:11], 1
	s_mul_i32 s22, s22, s69
	s_add_u32 s12, s6, s4
	s_addc_u32 s13, s7, s5
	s_add_i32 s3, s15, s14
	s_delay_alu instid0(SALU_CYCLE_1) | instskip(NEXT) | instid1(SALU_CYCLE_1)
	s_lshr_b32 s3, s3, s43
	s_mul_hi_u32 s4, s3, s38
	s_delay_alu instid0(SALU_CYCLE_1)
	s_add_i32 s14, s3, s4
	s_clause 0x1
	s_load_b32 s18, s[0:1], 0x27c
	s_load_b256 s[4:11], s[0:1], 0xb8
	s_waitcnt lgkmcnt(0)
	s_lshr_b32 s11, s14, s42
	s_clause 0x1
	s_load_b32 s14, s[0:1], 0x28c
	s_load_b128 s[48:51], s[0:1], 0x10c
	v_mul_lo_u32 v15, s2, v6
	v_mul_lo_u32 v2, s2, v1
	s_mul_hi_u32 s7, s11, s37
	s_mul_i32 s19, s11, s54
	s_add_i32 s7, s11, s7
	s_waitcnt lgkmcnt(0)
	s_sub_i32 s51, s3, s19
	s_lshr_b32 s27, s7, s41
	s_mul_i32 s3, s3, s55
	v_mul_hi_u32 v1, v15, s30
	s_mul_hi_u32 s7, s27, s36
	v_mul_hi_u32 v3, v2, s30
	s_add_i32 s7, s27, s7
	s_mov_b32 s19, 0x31004000
	s_lshr_b32 s7, s7, s40
	s_clause 0x1
	s_load_b256 s[36:43], s[0:1], 0x54
	s_load_b128 s[56:59], s[0:1], 0xd8
	s_mul_i32 s7, s7, s52
	v_add_nc_u32_e32 v1, v15, v1
	s_sub_i32 s7, s27, s7
	s_mul_i32 s27, s27, s53
	s_mul_i32 s7, s7, s18
	s_delay_alu instid0(VALU_DEP_1) | instskip(SKIP_2) | instid1(SALU_CYCLE_1)
	v_lshrrev_b32_e32 v4, s50, v1
	v_add_nc_u32_e32 v1, v2, v3
	s_add_i32 s51, s51, s7
	v_lshl_or_b32 v91, s51, 7, v7
	s_delay_alu instid0(VALU_DEP_3) | instskip(NEXT) | instid1(VALU_DEP_3)
	v_mul_hi_u32 v3, v4, s29
	v_lshrrev_b32_e32 v5, s50, v1
	v_mul_lo_u32 v9, v4, s26
	s_delay_alu instid0(VALU_DEP_4)
	v_mul_hi_u32 v8, v91, s10
	s_clause 0x4
	s_load_b32 s18, s[0:1], 0x160
	s_load_b32 s31, s[0:1], 0x170
	;; [unrolled: 1-line block ×5, first 2 shown]
	v_mul_hi_u32 v1, v5, s29
	v_mul_lo_u32 v10, v5, s26
	v_add_nc_u32_e32 v3, v4, v3
	s_clause 0x2
	s_load_b64 s[62:63], s[0:1], 0x88
	s_load_b64 s[64:65], s[0:1], 0x98
	;; [unrolled: 1-line block ×3, first 2 shown]
	v_sub_nc_u32_e32 v9, v15, v9
	s_waitcnt lgkmcnt(0)
	s_sub_i32 s39, s39, s41
	s_sub_i32 s36, s36, s38
	v_lshrrev_b32_e32 v11, s49, v3
	v_add_nc_u32_e32 v1, v5, v1
	v_add_nc_u32_e32 v3, v91, v8
	s_delay_alu instid0(VALU_DEP_3) | instskip(NEXT) | instid1(VALU_DEP_3)
	v_mul_hi_u32 v12, v11, s28
	v_lshrrev_b32_e32 v8, s49, v1
	s_delay_alu instid0(VALU_DEP_3)
	v_lshrrev_b32_e32 v13, s58, v3
	v_sub_nc_u32_e32 v1, v2, v10
	v_mul_lo_u32 v3, v11, s25
	s_lshl_b32 s18, s18, 1
	v_mul_hi_u32 v10, v8, s28
	v_mul_hi_u32 v16, v13, s9
	v_add_nc_u32_e32 v12, v11, v12
	v_mul_lo_u32 v14, v8, s25
	v_sub_nc_u32_e32 v17, v1, v9
	s_clause 0x1
	s_load_b32 s9, s[0:1], 0x1c0
	s_load_b64 s[58:59], s[0:1], 0x1d0
	v_sub_nc_u32_e32 v3, v4, v3
	v_lshrrev_b32_e32 v12, s48, v12
	v_add_nc_u32_e32 v10, v8, v10
	v_add_nc_u32_e32 v16, v13, v16
	v_mul_lo_u32 v9, v9, s68
	v_sub_nc_u32_e32 v93, v5, v14
	v_mul_lo_u32 v4, v12, s24
	v_lshrrev_b32_e32 v92, s48, v10
	v_lshrrev_b32_e32 v10, s57, v16
	v_mul_lo_u32 v14, v17, s68
	v_sub_nc_u32_e32 v5, v93, v3
	v_mul_lo_u32 v3, v3, s66
	v_mul_lo_u32 v16, v92, s24
	v_mul_hi_u32 v18, v10, s8
	v_sub_nc_u32_e32 v17, v92, v12
	v_sub_nc_u32_e32 v11, v11, v4
	v_mul_lo_u32 v4, v12, s62
	v_mul_lo_u32 v12, v13, s6
	;; [unrolled: 1-line block ×4, first 2 shown]
	v_sub_nc_u32_e32 v94, v8, v16
	v_add_nc_u32_e32 v8, v10, v18
	v_mul_lo_u32 v16, v10, s5
	v_mul_lo_u32 v5, v11, s64
	s_sub_i32 s5, s11, s27
	v_sub_nc_u32_e32 v12, v91, v12
	v_lshrrev_b32_e32 v8, s56, v8
	s_sub_i32 s56, s15, s3
	s_mul_i32 s5, s5, s14
	v_mul_lo_u32 v116, s10, v6
	v_sub_nc_u32_e32 v13, v13, v16
	v_mul_lo_u32 v17, v8, s4
	v_mad_u64_u32 v[96:97], null, v12, s67, v[3:4]
	s_add_i32 s56, s56, s5
	s_delay_alu instid0(VALU_DEP_3)
	v_mad_u64_u32 v[97:98], null, v13, s65, v[5:6]
	v_mul_lo_u32 v5, v117, s47
	v_lshl_or_b32 v119, s56, 7, v7
	v_sub_nc_u32_e32 v3, v10, v17
	v_sub_nc_u32_e32 v10, v94, v11
	v_mul_lo_u32 v11, v118, s45
	v_mul_lo_u32 v8, v8, s44
	;; [unrolled: 1-line block ×3, first 2 shown]
	s_lshl_b32 s6, s10, 2
	v_mad_u64_u32 v[114:115], null, v3, s63, v[4:5]
	v_subrev_nc_u32_e32 v3, s43, v96
	v_subrev_nc_u32_e32 v4, s40, v97
	v_mul_lo_u32 v115, v10, s64
	v_add3_u32 v5, v5, v14, v11
	v_add_nc_u32_e32 v12, v120, v116
	v_mul_lo_u32 v3, v3, s47
	v_mul_lo_u32 v4, v4, s46
	v_subrev_nc_u32_e32 v10, s37, v114
	s_mov_b32 s15, s19
	v_lshlrev_b32_e32 v13, 1, v12
	v_mul_lo_u32 v11, v115, s46
	s_waitcnt lgkmcnt(0)
	s_lshl_b32 s14, s9, 1
	v_mul_lo_u32 v10, v10, s45
	v_lshlrev_b32_e32 v7, 2, v7
	v_add3_u32 v3, v3, v9, v4
	v_add_lshl_u32 v4, v12, s6, 1
	buffer_load_b128 v[98:101], v13, s[12:15], 0 offen
	v_or_b32_e32 v14, 36, v6
	v_or_b32_e32 v12, 20, v6
	s_mul_i32 s67, s2, 12
	buffer_load_b128 v[102:105], v4, s[12:15], 0 offen
	v_add3_u32 v3, v3, v8, v10
	v_or_b32_e32 v13, 32, v6
	v_cmp_gt_i32_e32 vcc_lo, s7, v119
	v_cmp_le_i32_e64 s7, s43, v96
	v_mul_lo_u32 v9, s10, v12
	v_add3_u32 v95, v5, v11, v3
	v_lshlrev_b32_e32 v3, 1, v3
	v_or_b32_e32 v11, 16, v6
	s_lshl_b32 s41, s10, 5
	v_cmp_gt_i32_e64 s3, s71, v15
	v_lshlrev_b32_e32 v4, 1, v95
	s_clause 0x1
	buffer_load_b128 v[106:109], v3, s[16:19], 0 offen
	buffer_load_b128 v[110:113], v4, s[16:19], 0 offen
	v_lshrrev_b32_e32 v4, 5, v0
	v_lshlrev_b32_e32 v3, 1, v0
	v_mul_lo_u32 v10, s10, v11
	v_mul_lo_u32 v11, s2, v11
	s_clause 0x4
	s_load_b32 s11, s[0:1], 0x22c
	s_load_b32 s27, s[0:1], 0x238
	s_load_b64 s[52:53], s[0:1], 0x260
	s_load_b32 s8, s[0:1], 0x74
	s_load_b32 s9, s[0:1], 0x148
	v_dual_mov_b32 v33, 0 :: v_dual_and_b32 v8, 0x1f8, v3
	v_lshlrev_b32_e32 v5, 6, v4
	v_lshlrev_b32_e32 v0, 2, v0
	v_and_b32_e32 v3, 0x1fc, v3
	s_clause 0x3
	s_load_b32 s31, s[0:1], 0x1dc
	s_load_b32 s33, s[0:1], 0x1e8
	s_load_b64 s[54:55], s[0:1], 0x210
	s_load_b64 s[34:35], s[0:1], 0x220
	v_mov_b32_e32 v90, v11
	v_sub_nc_u32_e32 v5, v8, v5
	s_waitcnt lgkmcnt(0)
	s_lshl_b32 s55, s10, 6
	v_sub_nc_u32_e32 v8, v3, v8
	v_lshl_or_b32 v3, v6, 9, v7
	v_mul_lo_u32 v7, s10, v14
	v_and_or_b32 v82, v0, 4, v5
	v_add_nc_u32_e32 v0, s6, v116
	v_lshl_add_u32 v83, v4, 3, v8
	v_mul_lo_u32 v8, s10, v13
	v_cmp_gt_i32_e64 s4, s71, v2
	v_mul_lo_u32 v12, s2, v12
	v_cmp_gt_i32_e64 s6, s72, v0
	v_add_nc_u32_e32 v0, v96, v117
	s_sub_i32 s42, s42, s8
	s_lshl_b32 s8, s2, 2
	s_sub_i32 s38, s9, 32
	s_add_i32 s67, s8, s67
	v_cmp_gt_i32_e64 s8, s42, v96
	v_cmp_le_i32_e64 s9, s43, v0
	v_cmp_gt_i32_e64 s10, s42, v0
	v_add_nc_u32_e32 v96, v97, v115
	v_mul_lo_u32 v13, s2, v13
	v_mul_lo_u32 v14, s2, v14
	s_lshl_b32 s63, s2, 5
	v_cmp_gt_i32_e64 s2, s73, v91
	s_and_b32 s73, s7, s8
	v_cmp_le_i32_e64 s7, s40, v97
	v_cmp_gt_i32_e64 s8, s39, v97
	v_add_nc_u32_e32 v97, v114, v118
	s_and_b32 s9, s9, s10
	s_and_b32 s73, s3, s73
	;; [unrolled: 1-line block ×3, first 2 shown]
	v_cmp_le_i32_e64 s3, s40, v96
	v_cmp_gt_i32_e64 s4, s39, v96
	s_and_b32 s75, s7, s8
	v_cmp_le_i32_e64 s7, s37, v114
	v_cmp_gt_i32_e64 s8, s36, v114
	v_cmp_le_i32_e64 s9, s37, v97
	v_cmp_gt_i32_e64 s10, s36, v97
	v_cmp_gt_i32_e64 s5, s72, v116
	s_and_b32 s3, s3, s4
	s_and_b32 s4, s73, s75
	s_and_b32 s3, s74, s3
	s_and_b32 s7, s7, s8
	s_and_b32 s8, s9, s10
	s_and_b32 s4, s4, s7
	s_and_b32 s7, s3, s8
	s_and_b32 s3, s5, vcc_lo
	v_mov_b32_e32 v18, 0
	v_dual_mov_b32 v16, 0 :: v_dual_mov_b32 v17, 0
	v_dual_mov_b32 v29, 0 :: v_dual_lshlrev_b32 v80, 2, v83
	v_or_b32_e32 v4, 0x4000, v3
	v_or_b32_e32 v5, 0x2000, v3
	;; [unrolled: 1-line block ×3, first 2 shown]
	v_lshlrev_b32_e32 v81, 2, v82
	v_lshlrev_b32_e32 v15, 1, v7
	v_dual_mov_b32 v87, v14 :: v_dual_lshlrev_b32 v84, 1, v8
	v_lshlrev_b32_e32 v85, 1, v9
	v_dual_mov_b32 v89, v12 :: v_dual_lshlrev_b32 v86, 1, v10
	v_dual_mov_b32 v88, v13 :: v_dual_lshlrev_b32 v91, 1, v120
	s_mov_b32 s44, 0
	s_mov_b32 s53, 0
	s_mov_b32 s57, 0
	s_sub_i32 s65, 0, s26
	s_waitcnt vmcnt(3)
	v_cndmask_b32_e64 v99, 0, v99, s3
	v_cndmask_b32_e64 v98, 0, v98, s3
	;; [unrolled: 1-line block ×4, first 2 shown]
	s_and_b32 s3, s6, vcc_lo
	ds_store_2addr_stride64_b32 v3, v98, v99 offset0:64 offset1:66
	ds_store_2addr_stride64_b32 v3, v100, v101 offset0:68 offset1:70
	s_waitcnt vmcnt(2)
	v_cndmask_b32_e64 v105, 0, v105, s3
	v_cndmask_b32_e64 v104, 0, v104, s3
	;; [unrolled: 1-line block ×4, first 2 shown]
	s_and_b32 s3, s2, s4
	s_waitcnt vmcnt(1)
	v_cndmask_b32_e64 v98, 0, v109, s3
	v_cndmask_b32_e64 v99, 0, v108, s3
	;; [unrolled: 1-line block ×4, first 2 shown]
	s_and_b32 s3, s2, s7
	s_waitcnt vmcnt(0)
	v_cndmask_b32_e64 v107, 0, v111, s3
	v_cndmask_b32_e64 v108, 0, v110, s3
	;; [unrolled: 1-line block ×4, first 2 shown]
	ds_store_2addr_stride64_b32 v3, v102, v103 offset0:72 offset1:74
	ds_store_2addr_stride64_b32 v3, v101, v100 offset1:2
	ds_store_2addr_stride64_b32 v3, v99, v98 offset0:4 offset1:6
	ds_store_2addr_stride64_b32 v3, v108, v107 offset0:8 offset1:10
	;; [unrolled: 1-line block ×4, first 2 shown]
.LBB10_1:                               ; =>This Inner Loop Header: Depth=1
	v_mul_hi_u32 v99, s30, v90
	v_add_nc_u32_e32 v100, s44, v11
	v_mul_hi_u32 v105, s30, v89
	v_add_nc_u32_e32 v104, s44, v12
	v_add_nc_u32_e32 v112, s53, v10
	v_mul_hi_u32 v98, s30, v88
	v_cmp_gt_i32_e64 s3, s71, v100
	v_mul_hi_u32 v101, s30, v87
	v_add_nc_u32_e32 v99, v100, v99
	v_add3_u32 v2, s67, s67, v2
	v_add_nc_u32_e32 v90, s63, v90
	v_add_nc_u32_e32 v88, s63, v88
	s_add_i32 s57, s57, 32
	v_lshrrev_b32_e32 v99, s50, v99
	v_add_nc_u32_e32 v89, s63, v89
	v_add_nc_u32_e32 v87, s63, v87
	s_delay_alu instid0(VALU_DEP_3) | instskip(NEXT) | instid1(VALU_DEP_1)
	v_mul_lo_u32 v102, s65, v99
	v_add_nc_u32_e32 v106, v100, v102
	v_sub_nc_u32_e32 v1, v102, v1
	v_mul_hi_u32 v102, v99, s29
	s_delay_alu instid0(VALU_DEP_2) | instskip(NEXT) | instid1(VALU_DEP_2)
	v_add_nc_u32_e32 v1, v100, v1
	v_add_nc_u32_e32 v102, v99, v102
	s_delay_alu instid0(VALU_DEP_2) | instskip(NEXT) | instid1(VALU_DEP_2)
	v_mul_lo_u32 v1, v1, s68
	v_lshrrev_b32_e32 v102, s49, v102
	s_delay_alu instid0(VALU_DEP_1) | instskip(NEXT) | instid1(VALU_DEP_1)
	v_mul_lo_u32 v103, v102, s25
	v_sub_nc_u32_e32 v107, v99, v103
	v_mul_hi_u32 v99, v102, s28
	s_delay_alu instid0(VALU_DEP_2) | instskip(NEXT) | instid1(VALU_DEP_2)
	v_sub_nc_u32_e32 v93, v107, v93
	v_add_nc_u32_e32 v99, v102, v99
	s_delay_alu instid0(VALU_DEP_2) | instskip(NEXT) | instid1(VALU_DEP_2)
	v_mul_lo_u32 v93, v93, s66
	v_lshrrev_b32_e32 v108, s48, v99
	s_delay_alu instid0(VALU_DEP_2) | instskip(NEXT) | instid1(VALU_DEP_2)
	v_add_nc_u32_e32 v110, v93, v0
	v_mul_lo_u32 v99, v108, s24
	v_sub_nc_u32_e32 v92, v108, v92
	v_mul_lo_u32 v93, v93, s47
	s_delay_alu instid0(VALU_DEP_4) | instskip(SKIP_1) | instid1(VALU_DEP_4)
	v_cmp_le_i32_e64 s4, s43, v110
	v_cmp_gt_i32_e64 s5, s42, v110
	v_mul_lo_u32 v92, v92, s62
	v_sub_nc_u32_e32 v109, v102, v99
	v_add3_u32 v1, v1, v95, v93
	s_delay_alu instid0(VALU_DEP_4) | instskip(NEXT) | instid1(VALU_DEP_2)
	s_and_b32 s4, s4, s5
	v_sub_nc_u32_e32 v94, v109, v94
	s_delay_alu instid0(VALU_DEP_4) | instskip(SKIP_2) | instid1(VALU_DEP_3)
	v_add_nc_u32_e32 v97, v92, v97
	v_mul_lo_u32 v92, v92, s45
	s_and_b32 s5, s3, s4
	v_mul_lo_u32 v0, v94, s64
	s_delay_alu instid0(VALU_DEP_1) | instskip(SKIP_1) | instid1(VALU_DEP_2)
	v_add_nc_u32_e32 v96, v0, v96
	v_mul_lo_u32 v0, v0, s46
	v_cmp_le_i32_e64 s3, s40, v96
	v_cmp_gt_i32_e64 s4, s39, v96
	s_delay_alu instid0(VALU_DEP_3) | instskip(NEXT) | instid1(VALU_DEP_2)
	v_add3_u32 v111, v1, v92, v0
	s_and_b32 s3, s3, s4
	v_cmp_gt_i32_e64 s4, s36, v97
	s_and_b32 s5, s5, s3
	s_delay_alu instid0(VALU_DEP_2)
	v_lshlrev_b32_e32 v0, 1, v111
	v_cmp_le_i32_e64 s3, s37, v97
	buffer_load_b128 v[92:95], v0, s[16:19], 0 offen
	s_and_b32 s3, s3, s4
	v_add_nc_u32_e32 v0, v104, v105
	s_and_b32 s3, s3, s5
	s_delay_alu instid0(SALU_CYCLE_1)
	s_and_b32 s3, s2, s3
	s_waitcnt vmcnt(0)
	v_cndmask_b32_e64 v103, 0, v92, s3
	v_lshrrev_b32_e32 v92, s50, v0
	v_cndmask_b32_e64 v102, 0, v93, s3
	v_cndmask_b32_e64 v99, 0, v95, s3
	;; [unrolled: 1-line block ×3, first 2 shown]
	v_cmp_gt_i32_e64 s3, s71, v104
	v_mad_u64_u32 v[0:1], null, s65, v92, v[104:105]
	v_mul_hi_u32 v1, v92, s29
	s_delay_alu instid0(VALU_DEP_2) | instskip(NEXT) | instid1(VALU_DEP_2)
	v_sub_nc_u32_e32 v105, v0, v106
	v_add_nc_u32_e32 v1, v92, v1
	s_delay_alu instid0(VALU_DEP_2) | instskip(NEXT) | instid1(VALU_DEP_2)
	v_mul_lo_u32 v105, v105, s68
	v_lshrrev_b32_e32 v93, s49, v1
	s_delay_alu instid0(VALU_DEP_1) | instskip(NEXT) | instid1(VALU_DEP_1)
	v_mul_lo_u32 v1, v93, s25
	v_sub_nc_u32_e32 v92, v92, v1
	v_mul_hi_u32 v1, v93, s28
	s_delay_alu instid0(VALU_DEP_2) | instskip(NEXT) | instid1(VALU_DEP_2)
	v_sub_nc_u32_e32 v94, v92, v107
	v_add_nc_u32_e32 v1, v93, v1
	s_delay_alu instid0(VALU_DEP_2) | instskip(NEXT) | instid1(VALU_DEP_2)
	v_mul_lo_u32 v107, v94, s66
	v_lshrrev_b32_e32 v1, s48, v1
	s_delay_alu instid0(VALU_DEP_2) | instskip(NEXT) | instid1(VALU_DEP_2)
	v_add_nc_u32_e32 v94, v107, v110
	v_mul_lo_u32 v95, v1, s24
	v_sub_nc_u32_e32 v106, v1, v108
	v_mul_lo_u32 v107, v107, s47
	s_delay_alu instid0(VALU_DEP_4) | instskip(SKIP_1) | instid1(VALU_DEP_4)
	v_cmp_le_i32_e64 s4, s43, v94
	v_cmp_gt_i32_e64 s5, s42, v94
	v_mul_lo_u32 v106, v106, s62
	v_sub_nc_u32_e32 v93, v93, v95
	s_delay_alu instid0(VALU_DEP_3) | instskip(NEXT) | instid1(SALU_CYCLE_1)
	s_and_b32 s4, s4, s5
	s_and_b32 s5, s3, s4
	s_delay_alu instid0(VALU_DEP_1) | instskip(NEXT) | instid1(VALU_DEP_1)
	v_sub_nc_u32_e32 v95, v93, v109
	v_mul_lo_u32 v108, v95, s64
	s_delay_alu instid0(VALU_DEP_1) | instskip(SKIP_3) | instid1(VALU_DEP_4)
	v_add_nc_u32_e32 v95, v108, v96
	v_add_nc_u32_e32 v96, v106, v97
	v_mul_lo_u32 v97, v106, s45
	v_mul_lo_u32 v106, v108, s46
	v_cmp_le_i32_e64 s3, s40, v95
	v_cmp_gt_i32_e64 s4, s39, v95
	s_delay_alu instid0(VALU_DEP_4) | instskip(NEXT) | instid1(VALU_DEP_2)
	v_add3_u32 v97, v107, v105, v97
	s_and_b32 s3, s3, s4
	v_cmp_gt_i32_e64 s4, s36, v96
	s_and_b32 s5, s5, s3
	v_cmp_le_i32_e64 s3, s37, v96
	v_add3_u32 v97, v97, v111, v106
	s_delay_alu instid0(VALU_DEP_2) | instskip(NEXT) | instid1(VALU_DEP_1)
	s_and_b32 s3, s3, s4
	v_lshlrev_b32_e32 v105, 1, v97
	s_and_b32 s3, s3, s5
	s_delay_alu instid0(SALU_CYCLE_1)
	s_and_b32 s3, s2, s3
	buffer_load_b128 v[107:110], v105, s[16:19], 0 offen
	s_waitcnt vmcnt(0)
	v_cndmask_b32_e64 v106, 0, v108, s3
	v_add_nc_u32_e32 v108, v86, v91
	v_cndmask_b32_e64 v104, 0, v110, s3
	v_cndmask_b32_e64 v105, 0, v109, s3
	;; [unrolled: 1-line block ×3, first 2 shown]
	v_cmp_gt_i32_e64 s3, s72, v112
	buffer_load_b128 v[111:114], v108, s[12:15], 0 offen
	s_and_b32 s3, vcc_lo, s3
	s_waitcnt vmcnt(0)
	v_cndmask_b32_e64 v109, 0, v113, s3
	v_add_nc_u32_e32 v113, v85, v91
	v_cndmask_b32_e64 v110, 0, v112, s3
	v_add_nc_u32_e32 v112, s53, v9
	v_cndmask_b32_e64 v108, 0, v114, s3
	v_cndmask_b32_e64 v111, 0, v111, s3
	buffer_load_b128 v[115:118], v113, s[12:15], 0 offen
	s_waitcnt lgkmcnt(0)
	v_cmp_gt_i32_e64 s3, s72, v112
	s_waitcnt vmcnt(0)
	s_barrier
	s_delay_alu instid0(VALU_DEP_1) | instskip(NEXT) | instid1(SALU_CYCLE_1)
	s_and_b32 s3, vcc_lo, s3
	v_cndmask_b32_e64 v112, 0, v118, s3
	v_cndmask_b32_e64 v113, 0, v117, s3
	;; [unrolled: 1-line block ×3, first 2 shown]
	ds_load_b128 v[116:119], v80
	ds_load_b128 v[120:123], v81 offset:16384
	ds_load_b128 v[124:127], v81 offset:16640
	;; [unrolled: 1-line block ×3, first 2 shown]
	v_cndmask_b32_e64 v115, 0, v115, s3
	s_waitcnt lgkmcnt(2)
	v_dot2acc_f32_f16 v79, v116, v120
	s_waitcnt lgkmcnt(1)
	v_dual_dot2acc_f32_f16 v43, v117, v127 :: v_dual_dot2acc_f32_f16 v78, v116, v121
	v_dot2acc_f32_f16 v50, v116, v122
	v_dot2acc_f32_f16 v49, v116, v123
	;; [unrolled: 1-line block ×5, first 2 shown]
	v_dual_dot2acc_f32_f16 v40, v117, v123 :: v_dual_dot2acc_f32_f16 v71, v118, v120
	v_dot2acc_f32_f16 v70, v118, v121
	v_dot2acc_f32_f16 v38, v118, v122
	;; [unrolled: 1-line block ×6, first 2 shown]
	v_dual_dot2acc_f32_f16 v30, v119, v123 :: v_dual_dot2acc_f32_f16 v77, v116, v124
	v_dual_dot2acc_f32_f16 v76, v116, v125 :: v_dual_dot2acc_f32_f16 v69, v118, v124
	v_dot2acc_f32_f16 v45, v116, v126
	v_dual_dot2acc_f32_f16 v44, v116, v127 :: v_dual_dot2acc_f32_f16 v73, v117, v124
	v_dual_dot2acc_f32_f16 v72, v117, v125 :: v_dual_dot2acc_f32_f16 v37, v118, v126
	s_waitcnt lgkmcnt(0)
	v_dual_dot2acc_f32_f16 v42, v117, v126 :: v_dual_dot2acc_f32_f16 v63, v128, v120
	v_dual_dot2acc_f32_f16 v68, v118, v125 :: v_dual_dot2acc_f32_f16 v35, v119, v126
	;; [unrolled: 1-line block ×3, first 2 shown]
	v_dot2acc_f32_f16 v65, v119, v124
	v_dual_dot2acc_f32_f16 v64, v119, v125 :: v_dual_dot2acc_f32_f16 v59, v129, v120
	v_dual_dot2acc_f32_f16 v34, v119, v127 :: v_dual_dot2acc_f32_f16 v23, v129, v122
	ds_load_b128 v[116:119], v80 offset:512
	v_dual_dot2acc_f32_f16 v62, v128, v121 :: v_dual_dot2acc_f32_f16 v25, v130, v122
	v_dual_dot2acc_f32_f16 v16, v128, v123 :: v_dual_dot2acc_f32_f16 v51, v130, v121
	v_dual_dot2acc_f32_f16 v58, v129, v121 :: v_dual_dot2acc_f32_f16 v33, v131, v123
	v_dual_dot2acc_f32_f16 v22, v129, v123 :: v_dual_dot2acc_f32_f16 v61, v128, v124
	v_dual_dot2acc_f32_f16 v52, v130, v120 :: v_dual_dot2acc_f32_f16 v19, v128, v127
	v_dual_dot2acc_f32_f16 v24, v130, v123 :: v_dual_dot2acc_f32_f16 v57, v129, v124
	v_dual_dot2acc_f32_f16 v46, v131, v120 :: v_dual_dot2acc_f32_f16 v53, v129, v125
	v_dual_dot2acc_f32_f16 v54, v131, v121 :: v_dual_dot2acc_f32_f16 v21, v129, v126
	v_dual_dot2acc_f32_f16 v32, v131, v122 :: v_dual_dot2acc_f32_f16 v47, v130, v125
	ds_load_b128 v[120:123], v81 offset:16896
	v_dual_dot2acc_f32_f16 v60, v128, v125 :: v_dual_dot2acc_f32_f16 v27, v130, v126
	v_dual_dot2acc_f32_f16 v18, v128, v126 :: v_dual_dot2acc_f32_f16 v55, v131, v124
	v_dot2acc_f32_f16 v20, v129, v127
	v_dual_dot2acc_f32_f16 v48, v130, v124 :: v_dual_dot2acc_f32_f16 v29, v131, v127
	v_dot2acc_f32_f16 v26, v130, v127
	v_dot2acc_f32_f16 v56, v131, v125
	v_dot2acc_f32_f16 v28, v131, v126
	ds_load_b128 v[124:127], v81 offset:17152
	ds_load_b128 v[128:131], v80 offset:768
	s_waitcnt lgkmcnt(2)
	v_dot2acc_f32_f16 v71, v118, v120
	v_dot2acc_f32_f16 v79, v116, v120
	v_dual_dot2acc_f32_f16 v78, v116, v121 :: v_dual_dot2acc_f32_f16 v41, v117, v122
	v_dual_dot2acc_f32_f16 v50, v116, v122 :: v_dual_dot2acc_f32_f16 v39, v118, v123
	v_dot2acc_f32_f16 v49, v116, v123
	v_dot2acc_f32_f16 v75, v117, v120
	v_dual_dot2acc_f32_f16 v74, v117, v121 :: v_dual_dot2acc_f32_f16 v67, v119, v120
	v_dual_dot2acc_f32_f16 v40, v117, v123 :: v_dual_dot2acc_f32_f16 v31, v119, v122
	s_waitcnt lgkmcnt(1)
	v_dual_dot2acc_f32_f16 v70, v118, v121 :: v_dual_dot2acc_f32_f16 v77, v116, v124
	v_dual_dot2acc_f32_f16 v38, v118, v122 :: v_dual_dot2acc_f32_f16 v73, v117, v124
	v_dual_dot2acc_f32_f16 v66, v119, v121 :: v_dual_dot2acc_f32_f16 v45, v116, v126
	v_dual_dot2acc_f32_f16 v30, v119, v123 :: v_dual_dot2acc_f32_f16 v69, v118, v124
	v_dual_dot2acc_f32_f16 v76, v116, v125 :: v_dual_dot2acc_f32_f16 v43, v117, v127
	v_dual_dot2acc_f32_f16 v44, v116, v127 :: v_dual_dot2acc_f32_f16 v37, v118, v126
	v_dual_dot2acc_f32_f16 v72, v117, v125 :: v_dual_dot2acc_f32_f16 v65, v119, v124
	s_waitcnt lgkmcnt(0)
	v_dual_dot2acc_f32_f16 v42, v117, v126 :: v_dual_dot2acc_f32_f16 v63, v128, v120
	v_dual_dot2acc_f32_f16 v68, v118, v125 :: v_dual_dot2acc_f32_f16 v35, v119, v126
	v_dual_dot2acc_f32_f16 v36, v118, v127 :: v_dual_dot2acc_f32_f16 v17, v128, v122
	v_dual_dot2acc_f32_f16 v64, v119, v125 :: v_dual_dot2acc_f32_f16 v59, v129, v120
	v_dual_dot2acc_f32_f16 v34, v119, v127 :: v_dual_dot2acc_f32_f16 v23, v129, v122
	ds_load_b128 v[116:119], v80 offset:1024
	v_dual_dot2acc_f32_f16 v62, v128, v121 :: v_dual_dot2acc_f32_f16 v25, v130, v122
	v_dual_dot2acc_f32_f16 v16, v128, v123 :: v_dual_dot2acc_f32_f16 v51, v130, v121
	v_dual_dot2acc_f32_f16 v58, v129, v121 :: v_dual_dot2acc_f32_f16 v33, v131, v123
	v_dual_dot2acc_f32_f16 v22, v129, v123 :: v_dual_dot2acc_f32_f16 v61, v128, v124
	v_dual_dot2acc_f32_f16 v52, v130, v120 :: v_dual_dot2acc_f32_f16 v19, v128, v127
	v_dual_dot2acc_f32_f16 v24, v130, v123 :: v_dual_dot2acc_f32_f16 v57, v129, v124
	v_dual_dot2acc_f32_f16 v46, v131, v120 :: v_dual_dot2acc_f32_f16 v53, v129, v125
	v_dual_dot2acc_f32_f16 v54, v131, v121 :: v_dual_dot2acc_f32_f16 v21, v129, v126
	v_dual_dot2acc_f32_f16 v32, v131, v122 :: v_dual_dot2acc_f32_f16 v47, v130, v125
	ds_load_b128 v[120:123], v81 offset:17408
	v_dual_dot2acc_f32_f16 v60, v128, v125 :: v_dual_dot2acc_f32_f16 v27, v130, v126
	v_dual_dot2acc_f32_f16 v18, v128, v126 :: v_dual_dot2acc_f32_f16 v55, v131, v124
	v_dot2acc_f32_f16 v20, v129, v127
	v_dual_dot2acc_f32_f16 v48, v130, v124 :: v_dual_dot2acc_f32_f16 v29, v131, v127
	v_dot2acc_f32_f16 v26, v130, v127
	v_dot2acc_f32_f16 v56, v131, v125
	v_dot2acc_f32_f16 v28, v131, v126
	ds_load_b128 v[124:127], v81 offset:17664
	ds_load_b128 v[128:131], v80 offset:1280
	s_waitcnt lgkmcnt(2)
	v_dot2acc_f32_f16 v71, v118, v120
	v_dot2acc_f32_f16 v79, v116, v120
	v_dual_dot2acc_f32_f16 v78, v116, v121 :: v_dual_dot2acc_f32_f16 v41, v117, v122
	v_dual_dot2acc_f32_f16 v50, v116, v122 :: v_dual_dot2acc_f32_f16 v39, v118, v123
	v_dot2acc_f32_f16 v49, v116, v123
	v_dot2acc_f32_f16 v75, v117, v120
	v_dual_dot2acc_f32_f16 v74, v117, v121 :: v_dual_dot2acc_f32_f16 v67, v119, v120
	v_dual_dot2acc_f32_f16 v40, v117, v123 :: v_dual_dot2acc_f32_f16 v31, v119, v122
	s_waitcnt lgkmcnt(1)
	v_dual_dot2acc_f32_f16 v70, v118, v121 :: v_dual_dot2acc_f32_f16 v77, v116, v124
	v_dual_dot2acc_f32_f16 v38, v118, v122 :: v_dual_dot2acc_f32_f16 v73, v117, v124
	v_dual_dot2acc_f32_f16 v66, v119, v121 :: v_dual_dot2acc_f32_f16 v45, v116, v126
	v_dual_dot2acc_f32_f16 v30, v119, v123 :: v_dual_dot2acc_f32_f16 v69, v118, v124
	v_dual_dot2acc_f32_f16 v76, v116, v125 :: v_dual_dot2acc_f32_f16 v43, v117, v127
	v_dual_dot2acc_f32_f16 v44, v116, v127 :: v_dual_dot2acc_f32_f16 v37, v118, v126
	v_dual_dot2acc_f32_f16 v72, v117, v125 :: v_dual_dot2acc_f32_f16 v65, v119, v124
	s_waitcnt lgkmcnt(0)
	v_dual_dot2acc_f32_f16 v42, v117, v126 :: v_dual_dot2acc_f32_f16 v63, v128, v120
	v_dual_dot2acc_f32_f16 v68, v118, v125 :: v_dual_dot2acc_f32_f16 v35, v119, v126
	v_dual_dot2acc_f32_f16 v36, v118, v127 :: v_dual_dot2acc_f32_f16 v17, v128, v122
	;; [unrolled: 43-line block ×14, first 2 shown]
	v_dual_dot2acc_f32_f16 v64, v119, v125 :: v_dual_dot2acc_f32_f16 v59, v129, v120
	v_dual_dot2acc_f32_f16 v34, v119, v127 :: v_dual_dot2acc_f32_f16 v23, v129, v122
	ds_load_b128 v[116:119], v80 offset:7680
	v_dual_dot2acc_f32_f16 v62, v128, v121 :: v_dual_dot2acc_f32_f16 v25, v130, v122
	v_dual_dot2acc_f32_f16 v16, v128, v123 :: v_dual_dot2acc_f32_f16 v51, v130, v121
	;; [unrolled: 1-line block ×9, first 2 shown]
	ds_load_b128 v[120:123], v81 offset:24064
	v_dual_dot2acc_f32_f16 v60, v128, v125 :: v_dual_dot2acc_f32_f16 v27, v130, v126
	v_dual_dot2acc_f32_f16 v18, v128, v126 :: v_dual_dot2acc_f32_f16 v55, v131, v124
	v_dot2acc_f32_f16 v20, v129, v127
	v_dual_dot2acc_f32_f16 v48, v130, v124 :: v_dual_dot2acc_f32_f16 v29, v131, v127
	v_dot2acc_f32_f16 v26, v130, v127
	v_dot2acc_f32_f16 v56, v131, v125
	;; [unrolled: 1-line block ×3, first 2 shown]
	ds_load_b128 v[124:127], v81 offset:24320
	ds_load_b128 v[128:131], v80 offset:7936
	ds_store_2addr_stride64_b32 v3, v103, v102 offset0:32 offset1:34
	ds_store_2addr_stride64_b32 v3, v100, v99 offset0:36 offset1:38
	ds_store_b32 v5, v107 offset:2048
	ds_store_2addr_stride64_b32 v3, v106, v105 offset0:42 offset1:44
	ds_store_2addr_stride64_b32 v3, v104, v111 offset0:46 offset1:96
	;; [unrolled: 1-line block ×3, first 2 shown]
	ds_store_b32 v6, v115 offset:2048
	ds_store_2addr_stride64_b32 v3, v108, v114 offset0:102 offset1:106
	ds_store_2addr_stride64_b32 v3, v113, v112 offset0:108 offset1:110
	v_add_nc_u32_e32 v99, s44, v13
	s_delay_alu instid0(VALU_DEP_1)
	v_cmp_gt_i32_e64 s3, s71, v99
	s_waitcnt lgkmcnt(11)
	v_dot2acc_f32_f16 v71, v118, v120
	v_dot2acc_f32_f16 v79, v116, v120
	v_dual_dot2acc_f32_f16 v49, v116, v123 :: v_dual_add_nc_u32 v98, v99, v98
	v_dual_dot2acc_f32_f16 v75, v117, v120 :: v_dual_dot2acc_f32_f16 v78, v116, v121
	v_dot2acc_f32_f16 v41, v117, v122
	v_dual_dot2acc_f32_f16 v40, v117, v123 :: v_dual_dot2acc_f32_f16 v31, v119, v122
	s_delay_alu instid0(VALU_DEP_4)
	v_lshrrev_b32_e32 v98, s50, v98
	v_dual_dot2acc_f32_f16 v50, v116, v122 :: v_dual_dot2acc_f32_f16 v39, v118, v123
	s_waitcnt lgkmcnt(9)
	v_dot2acc_f32_f16 v20, v129, v127
	v_dual_dot2acc_f32_f16 v66, v119, v121 :: v_dual_dot2acc_f32_f16 v45, v116, v126
	v_mad_u64_u32 v[103:104], null, s65, v98, v[99:100]
	v_mul_hi_u32 v100, v98, s29
	v_add_nc_u32_e32 v104, s44, v14
	v_dual_dot2acc_f32_f16 v74, v117, v121 :: v_dual_dot2acc_f32_f16 v67, v119, v120
	v_dual_dot2acc_f32_f16 v70, v118, v121 :: v_dual_dot2acc_f32_f16 v77, v116, v124
	v_sub_nc_u32_e32 v0, v103, v0
	v_dual_dot2acc_f32_f16 v38, v118, v122 :: v_dual_dot2acc_f32_f16 v73, v117, v124
	v_add_nc_u32_e32 v100, v98, v100
	v_dual_dot2acc_f32_f16 v76, v116, v125 :: v_dual_dot2acc_f32_f16 v43, v117, v127
	s_delay_alu instid0(VALU_DEP_4) | instskip(SKIP_1) | instid1(VALU_DEP_4)
	v_mul_lo_u32 v0, v0, s68
	v_dual_dot2acc_f32_f16 v30, v119, v123 :: v_dual_dot2acc_f32_f16 v69, v118, v124
	v_lshrrev_b32_e32 v100, s49, v100
	v_add_nc_u32_e32 v112, s53, v8
	v_dual_dot2acc_f32_f16 v44, v116, v127 :: v_dual_dot2acc_f32_f16 v37, v118, v126
	v_dual_dot2acc_f32_f16 v72, v117, v125 :: v_dual_dot2acc_f32_f16 v65, v119, v124
	s_delay_alu instid0(VALU_DEP_4)
	v_mul_lo_u32 v102, v100, s25
	v_dual_dot2acc_f32_f16 v42, v117, v126 :: v_dual_dot2acc_f32_f16 v63, v128, v120
	v_dual_dot2acc_f32_f16 v68, v118, v125 :: v_dual_dot2acc_f32_f16 v35, v119, v126
	;; [unrolled: 1-line block ×4, first 2 shown]
	v_sub_nc_u32_e32 v105, v98, v102
	v_mul_hi_u32 v98, v100, s28
	v_dual_dot2acc_f32_f16 v34, v119, v127 :: v_dual_dot2acc_f32_f16 v23, v129, v122
	v_dual_dot2acc_f32_f16 v62, v128, v121 :: v_dual_dot2acc_f32_f16 v25, v130, v122
	s_delay_alu instid0(VALU_DEP_4) | instskip(SKIP_3) | instid1(VALU_DEP_4)
	v_sub_nc_u32_e32 v92, v105, v92
	v_dual_dot2acc_f32_f16 v16, v128, v123 :: v_dual_dot2acc_f32_f16 v51, v130, v121
	v_add_nc_u32_e32 v98, v100, v98
	v_dual_dot2acc_f32_f16 v58, v129, v121 :: v_dual_dot2acc_f32_f16 v33, v131, v123
	v_mul_lo_u32 v92, v92, s66
	v_dual_dot2acc_f32_f16 v22, v129, v123 :: v_dual_dot2acc_f32_f16 v61, v128, v124
	s_delay_alu instid0(VALU_DEP_4) | instskip(SKIP_2) | instid1(VALU_DEP_3)
	v_lshrrev_b32_e32 v106, s48, v98
	v_dual_dot2acc_f32_f16 v52, v130, v120 :: v_dual_dot2acc_f32_f16 v19, v128, v127
	v_dual_dot2acc_f32_f16 v24, v130, v123 :: v_dual_dot2acc_f32_f16 v57, v129, v124
	v_mul_lo_u32 v98, v106, s24
	v_sub_nc_u32_e32 v1, v106, v1
	v_add_nc_u32_e32 v108, v92, v94
	v_mul_lo_u32 v92, v92, s47
	v_dual_dot2acc_f32_f16 v46, v131, v120 :: v_dual_dot2acc_f32_f16 v53, v129, v125
	s_delay_alu instid0(VALU_DEP_4) | instskip(NEXT) | instid1(VALU_DEP_4)
	v_mul_lo_u32 v1, v1, s62
	v_cmp_le_i32_e64 s4, s43, v108
	v_sub_nc_u32_e32 v107, v100, v98
	v_cmp_gt_i32_e64 s5, s42, v108
	v_dual_dot2acc_f32_f16 v54, v131, v121 :: v_dual_dot2acc_f32_f16 v21, v129, v126
	v_dual_dot2acc_f32_f16 v32, v131, v122 :: v_dual_dot2acc_f32_f16 v47, v130, v125
	s_delay_alu instid0(VALU_DEP_4)
	v_sub_nc_u32_e32 v93, v107, v93
	v_add_nc_u32_e32 v110, v1, v96
	v_mul_lo_u32 v1, v1, s45
	s_and_b32 s4, s4, s5
	v_dual_dot2acc_f32_f16 v60, v128, v125 :: v_dual_dot2acc_f32_f16 v27, v130, v126
	v_mul_lo_u32 v93, v93, s64
	v_dot2acc_f32_f16 v56, v131, v125
	s_and_b32 s5, s3, s4
	v_dual_dot2acc_f32_f16 v18, v128, v126 :: v_dual_dot2acc_f32_f16 v55, v131, v124
	v_add3_u32 v0, v92, v0, v1
	v_dual_dot2acc_f32_f16 v48, v130, v124 :: v_dual_dot2acc_f32_f16 v29, v131, v127
	v_add_nc_u32_e32 v109, v93, v95
	v_mul_lo_u32 v93, v93, s46
	s_add_i32 s44, s44, s63
	s_delay_alu instid0(VALU_DEP_2) | instskip(SKIP_1) | instid1(VALU_DEP_3)
	v_cmp_le_i32_e64 s3, s40, v109
	v_cmp_gt_i32_e64 s4, s39, v109
	v_add3_u32 v111, v0, v93, v97
	s_delay_alu instid0(VALU_DEP_2) | instskip(SKIP_2) | instid1(VALU_DEP_2)
	s_and_b32 s3, s3, s4
	v_cmp_gt_i32_e64 s4, s36, v110
	s_and_b32 s5, s5, s3
	v_lshlrev_b32_e32 v0, 1, v111
	v_cmp_le_i32_e64 s3, s37, v110
	buffer_load_b128 v[92:95], v0, s[16:19], 0 offen
	v_add_nc_u32_e32 v0, v104, v101
	s_and_b32 s3, s3, s4
	s_delay_alu instid0(SALU_CYCLE_1) | instskip(NEXT) | instid1(VALU_DEP_1)
	s_and_b32 s3, s3, s5
	v_lshrrev_b32_e32 v0, s50, v0
	s_and_b32 s3, s2, s3
	s_delay_alu instid0(VALU_DEP_1) | instskip(NEXT) | instid1(VALU_DEP_1)
	v_mul_lo_u32 v1, v0, s26
	v_sub_nc_u32_e32 v1, v2, v1
	s_waitcnt vmcnt(0)
	v_cndmask_b32_e64 v100, 0, v93, s3
	v_cndmask_b32_e64 v102, 0, v92, s3
	v_mad_u64_u32 v[92:93], null, s65, v0, v[104:105]
	v_cndmask_b32_e64 v98, 0, v95, s3
	v_cndmask_b32_e64 v99, 0, v94, s3
	v_cmp_gt_i32_e64 s3, s71, v104
	s_delay_alu instid0(VALU_DEP_4) | instskip(SKIP_1) | instid1(VALU_DEP_2)
	v_sub_nc_u32_e32 v95, v92, v103
	v_mul_hi_u32 v92, v0, s29
	v_mul_lo_u32 v95, v95, s68
	s_delay_alu instid0(VALU_DEP_2) | instskip(NEXT) | instid1(VALU_DEP_1)
	v_add_nc_u32_e32 v92, v0, v92
	v_lshrrev_b32_e32 v94, s49, v92
	s_delay_alu instid0(VALU_DEP_1) | instskip(NEXT) | instid1(VALU_DEP_1)
	v_mul_lo_u32 v92, v94, s25
	v_sub_nc_u32_e32 v93, v0, v92
	v_mul_hi_u32 v92, v94, s28
	s_delay_alu instid0(VALU_DEP_2) | instskip(NEXT) | instid1(VALU_DEP_2)
	v_sub_nc_u32_e32 v0, v93, v105
	v_add_nc_u32_e32 v92, v94, v92
	s_delay_alu instid0(VALU_DEP_2) | instskip(NEXT) | instid1(VALU_DEP_2)
	v_mul_lo_u32 v101, v0, s66
	v_lshrrev_b32_e32 v92, s48, v92
	s_delay_alu instid0(VALU_DEP_2) | instskip(NEXT) | instid1(VALU_DEP_2)
	v_add_nc_u32_e32 v0, v101, v108
	v_mul_lo_u32 v96, v92, s24
	v_sub_nc_u32_e32 v97, v92, v106
	v_mul_lo_u32 v101, v101, s47
	s_delay_alu instid0(VALU_DEP_4) | instskip(SKIP_1) | instid1(VALU_DEP_4)
	v_cmp_le_i32_e64 s4, s43, v0
	v_cmp_gt_i32_e64 s5, s42, v0
	v_mul_lo_u32 v105, v97, s62
	v_dot2acc_f32_f16 v26, v130, v127
	v_sub_nc_u32_e32 v94, v94, v96
	s_delay_alu instid0(VALU_DEP_4) | instskip(NEXT) | instid1(SALU_CYCLE_1)
	s_and_b32 s4, s4, s5
	s_and_b32 s5, s3, s4
	s_delay_alu instid0(VALU_DEP_1) | instskip(NEXT) | instid1(VALU_DEP_4)
	v_sub_nc_u32_e32 v96, v94, v107
	v_add_nc_u32_e32 v97, v105, v110
	v_mul_lo_u32 v105, v105, s45
	s_delay_alu instid0(VALU_DEP_3) | instskip(NEXT) | instid1(VALU_DEP_2)
	v_mul_lo_u32 v103, v96, s64
	v_add3_u32 v95, v101, v95, v105
	s_delay_alu instid0(VALU_DEP_2) | instskip(SKIP_1) | instid1(VALU_DEP_2)
	v_add_nc_u32_e32 v96, v103, v109
	v_mul_lo_u32 v103, v103, s46
	v_cmp_le_i32_e64 s3, s40, v96
	v_cmp_gt_i32_e64 s4, s39, v96
	s_delay_alu instid0(VALU_DEP_3) | instskip(SKIP_1) | instid1(VALU_DEP_3)
	v_add3_u32 v95, v95, v103, v111
	v_dot2acc_f32_f16 v28, v131, v126
	s_and_b32 s3, s3, s4
	v_cmp_gt_i32_e64 s4, s36, v97
	s_and_b32 s5, s5, s3
	v_lshlrev_b32_e32 v101, 1, v95
	v_cmp_le_i32_e64 s3, s37, v97
	buffer_load_b128 v[103:106], v101, s[16:19], 0 offen
	s_and_b32 s3, s3, s4
	v_add_nc_u32_e32 v101, v84, v91
	s_and_b32 s3, s3, s5
	s_delay_alu instid0(SALU_CYCLE_1)
	s_and_b32 s3, s2, s3
	s_waitcnt vmcnt(0)
	v_cndmask_b32_e64 v106, 0, v106, s3
	v_cndmask_b32_e64 v107, 0, v105, s3
	;; [unrolled: 1-line block ×4, first 2 shown]
	v_cmp_gt_i32_e64 s3, s72, v112
	buffer_load_b128 v[110:113], v101, s[12:15], 0 offen
	s_and_b32 s3, vcc_lo, s3
	s_waitcnt vmcnt(0)
	v_cndmask_b32_e64 v105, 0, v110, s3
	v_add_nc_u32_e32 v110, v15, v91
	v_cndmask_b32_e64 v101, 0, v113, s3
	v_cndmask_b32_e64 v104, 0, v111, s3
	v_add_nc_u32_e32 v111, s53, v7
	v_cndmask_b32_e64 v103, 0, v112, s3
	buffer_load_b128 v[113:116], v110, s[12:15], 0 offen
	s_waitcnt vmcnt(0) lgkmcnt(0)
	s_barrier
	v_cmp_gt_i32_e64 s3, s72, v111
	v_add_nc_u32_e32 v91, s55, v91
	s_add_i32 s53, s53, s41
	s_delay_alu instid0(VALU_DEP_2)
	s_and_b32 s3, vcc_lo, s3
	s_cmp_lt_i32 s57, s38
	v_cndmask_b32_e64 v110, 0, v116, s3
	v_cndmask_b32_e64 v111, 0, v115, s3
	;; [unrolled: 1-line block ×3, first 2 shown]
	ds_load_b128 v[114:117], v80 offset:8192
	ds_load_b128 v[118:121], v81 offset:24576
	;; [unrolled: 1-line block ×4, first 2 shown]
	v_cndmask_b32_e64 v113, 0, v113, s3
	s_waitcnt lgkmcnt(2)
	v_dual_dot2acc_f32_f16 v40, v115, v121 :: v_dual_dot2acc_f32_f16 v79, v114, v118
	s_waitcnt lgkmcnt(1)
	v_dual_dot2acc_f32_f16 v78, v114, v119 :: v_dual_dot2acc_f32_f16 v65, v117, v122
	v_dot2acc_f32_f16 v50, v114, v120
	v_dot2acc_f32_f16 v49, v114, v121
	;; [unrolled: 1-line block ×3, first 2 shown]
	v_dual_dot2acc_f32_f16 v74, v115, v119 :: v_dual_dot2acc_f32_f16 v35, v117, v124
	v_dot2acc_f32_f16 v41, v115, v120
	v_dot2acc_f32_f16 v71, v116, v118
	s_waitcnt lgkmcnt(0)
	v_dual_dot2acc_f32_f16 v70, v116, v119 :: v_dual_dot2acc_f32_f16 v63, v126, v118
	v_dual_dot2acc_f32_f16 v38, v116, v120 :: v_dual_dot2acc_f32_f16 v59, v127, v118
	v_dot2acc_f32_f16 v39, v116, v121
	v_dot2acc_f32_f16 v67, v117, v118
	v_dual_dot2acc_f32_f16 v66, v117, v119 :: v_dual_dot2acc_f32_f16 v17, v126, v120
	v_dot2acc_f32_f16 v31, v117, v120
	v_dual_dot2acc_f32_f16 v30, v117, v121 :: v_dual_dot2acc_f32_f16 v23, v127, v120
	;; [unrolled: 2-line block ×5, first 2 shown]
	v_dual_dot2acc_f32_f16 v42, v115, v124 :: v_dual_dot2acc_f32_f16 v61, v126, v122
	v_dot2acc_f32_f16 v43, v115, v125
	v_dot2acc_f32_f16 v69, v116, v122
	v_dual_dot2acc_f32_f16 v68, v116, v123 :: v_dual_dot2acc_f32_f16 v19, v126, v125
	v_dot2acc_f32_f16 v37, v116, v124
	v_dual_dot2acc_f32_f16 v36, v116, v125 :: v_dual_dot2acc_f32_f16 v57, v127, v122
	v_dual_dot2acc_f32_f16 v64, v117, v123 :: v_dual_dot2acc_f32_f16 v21, v127, v124
	v_dual_dot2acc_f32_f16 v34, v117, v125 :: v_dual_dot2acc_f32_f16 v53, v127, v123
	ds_load_b128 v[114:117], v80 offset:8704
	v_dual_dot2acc_f32_f16 v62, v126, v119 :: v_dual_dot2acc_f32_f16 v27, v128, v124
	v_dual_dot2acc_f32_f16 v16, v126, v121 :: v_dual_dot2acc_f32_f16 v47, v128, v123
	v_dual_dot2acc_f32_f16 v58, v127, v119 :: v_dual_dot2acc_f32_f16 v55, v129, v122
	v_dot2acc_f32_f16 v22, v127, v121
	v_dual_dot2acc_f32_f16 v52, v128, v118 :: v_dual_dot2acc_f32_f16 v29, v129, v125
	v_dot2acc_f32_f16 v24, v128, v121
	v_dot2acc_f32_f16 v46, v129, v118
	v_dot2acc_f32_f16 v54, v129, v119
	v_dot2acc_f32_f16 v32, v129, v120
	ds_load_b128 v[118:121], v81 offset:25088
	v_dot2acc_f32_f16 v60, v126, v123
	v_dot2acc_f32_f16 v18, v126, v124
	v_dot2acc_f32_f16 v20, v127, v125
	v_dot2acc_f32_f16 v48, v128, v122
	v_dot2acc_f32_f16 v26, v128, v125
	v_dot2acc_f32_f16 v56, v129, v123
	v_dot2acc_f32_f16 v28, v129, v124
	ds_load_b128 v[122:125], v81 offset:25344
	ds_load_b128 v[126:129], v80 offset:8960
	s_waitcnt lgkmcnt(2)
	v_dot2acc_f32_f16 v79, v114, v118
	v_dot2acc_f32_f16 v78, v114, v119
	v_dot2acc_f32_f16 v50, v114, v120
	v_dot2acc_f32_f16 v49, v114, v121
	v_dot2acc_f32_f16 v75, v115, v118
	v_dot2acc_f32_f16 v74, v115, v119
	v_dot2acc_f32_f16 v41, v115, v120
	s_waitcnt lgkmcnt(1)
	v_dual_dot2acc_f32_f16 v37, v116, v124 :: v_dual_dot2acc_f32_f16 v40, v115, v121
	v_dot2acc_f32_f16 v35, v117, v124
	v_dot2acc_f32_f16 v71, v116, v118
	s_waitcnt lgkmcnt(0)
	v_dual_dot2acc_f32_f16 v70, v116, v119 :: v_dual_dot2acc_f32_f16 v63, v126, v118
	v_dual_dot2acc_f32_f16 v38, v116, v120 :: v_dual_dot2acc_f32_f16 v59, v127, v118
	v_dot2acc_f32_f16 v39, v116, v121
	v_dot2acc_f32_f16 v67, v117, v118
	v_dual_dot2acc_f32_f16 v66, v117, v119 :: v_dual_dot2acc_f32_f16 v17, v126, v120
	v_dot2acc_f32_f16 v31, v117, v120
	v_dual_dot2acc_f32_f16 v30, v117, v121 :: v_dual_dot2acc_f32_f16 v23, v127, v120
	v_dot2acc_f32_f16 v77, v114, v122
	v_dual_dot2acc_f32_f16 v76, v114, v123 :: v_dual_dot2acc_f32_f16 v25, v128, v120
	v_dot2acc_f32_f16 v45, v114, v124
	v_dual_dot2acc_f32_f16 v44, v114, v125 :: v_dual_dot2acc_f32_f16 v51, v128, v119
	v_dot2acc_f32_f16 v73, v115, v122
	v_dual_dot2acc_f32_f16 v72, v115, v123 :: v_dual_dot2acc_f32_f16 v33, v129, v121
	v_dual_dot2acc_f32_f16 v42, v115, v124 :: v_dual_dot2acc_f32_f16 v61, v126, v122
	v_dot2acc_f32_f16 v43, v115, v125
	v_dot2acc_f32_f16 v69, v116, v122
	v_dual_dot2acc_f32_f16 v68, v116, v123 :: v_dual_dot2acc_f32_f16 v19, v126, v125
	v_dual_dot2acc_f32_f16 v36, v116, v125 :: v_dual_dot2acc_f32_f16 v57, v127, v122
	v_dot2acc_f32_f16 v65, v117, v122
	v_dual_dot2acc_f32_f16 v64, v117, v123 :: v_dual_dot2acc_f32_f16 v21, v127, v124
	v_dual_dot2acc_f32_f16 v34, v117, v125 :: v_dual_dot2acc_f32_f16 v53, v127, v123
	ds_load_b128 v[114:117], v80 offset:9216
	v_dual_dot2acc_f32_f16 v62, v126, v119 :: v_dual_dot2acc_f32_f16 v27, v128, v124
	v_dual_dot2acc_f32_f16 v16, v126, v121 :: v_dual_dot2acc_f32_f16 v47, v128, v123
	v_dual_dot2acc_f32_f16 v58, v127, v119 :: v_dual_dot2acc_f32_f16 v55, v129, v122
	v_dot2acc_f32_f16 v22, v127, v121
	v_dual_dot2acc_f32_f16 v52, v128, v118 :: v_dual_dot2acc_f32_f16 v29, v129, v125
	v_dot2acc_f32_f16 v24, v128, v121
	v_dot2acc_f32_f16 v46, v129, v118
	v_dot2acc_f32_f16 v54, v129, v119
	v_dot2acc_f32_f16 v32, v129, v120
	ds_load_b128 v[118:121], v81 offset:25600
	v_dot2acc_f32_f16 v60, v126, v123
	v_dot2acc_f32_f16 v18, v126, v124
	v_dot2acc_f32_f16 v20, v127, v125
	v_dot2acc_f32_f16 v48, v128, v122
	v_dot2acc_f32_f16 v26, v128, v125
	v_dot2acc_f32_f16 v56, v129, v123
	v_dot2acc_f32_f16 v28, v129, v124
	ds_load_b128 v[122:125], v81 offset:25856
	ds_load_b128 v[126:129], v80 offset:9472
	s_waitcnt lgkmcnt(2)
	v_dot2acc_f32_f16 v79, v114, v118
	v_dot2acc_f32_f16 v78, v114, v119
	v_dot2acc_f32_f16 v50, v114, v120
	v_dot2acc_f32_f16 v49, v114, v121
	v_dot2acc_f32_f16 v75, v115, v118
	v_dot2acc_f32_f16 v74, v115, v119
	v_dot2acc_f32_f16 v41, v115, v120
	s_waitcnt lgkmcnt(1)
	v_dual_dot2acc_f32_f16 v37, v116, v124 :: v_dual_dot2acc_f32_f16 v40, v115, v121
	v_dot2acc_f32_f16 v35, v117, v124
	v_dot2acc_f32_f16 v71, v116, v118
	s_waitcnt lgkmcnt(0)
	v_dual_dot2acc_f32_f16 v70, v116, v119 :: v_dual_dot2acc_f32_f16 v63, v126, v118
	v_dual_dot2acc_f32_f16 v38, v116, v120 :: v_dual_dot2acc_f32_f16 v59, v127, v118
	v_dot2acc_f32_f16 v39, v116, v121
	v_dot2acc_f32_f16 v67, v117, v118
	v_dual_dot2acc_f32_f16 v66, v117, v119 :: v_dual_dot2acc_f32_f16 v17, v126, v120
	v_dot2acc_f32_f16 v31, v117, v120
	v_dual_dot2acc_f32_f16 v30, v117, v121 :: v_dual_dot2acc_f32_f16 v23, v127, v120
	v_dot2acc_f32_f16 v77, v114, v122
	v_dual_dot2acc_f32_f16 v76, v114, v123 :: v_dual_dot2acc_f32_f16 v25, v128, v120
	v_dot2acc_f32_f16 v45, v114, v124
	v_dual_dot2acc_f32_f16 v44, v114, v125 :: v_dual_dot2acc_f32_f16 v51, v128, v119
	v_dot2acc_f32_f16 v73, v115, v122
	v_dual_dot2acc_f32_f16 v72, v115, v123 :: v_dual_dot2acc_f32_f16 v33, v129, v121
	v_dual_dot2acc_f32_f16 v42, v115, v124 :: v_dual_dot2acc_f32_f16 v61, v126, v122
	v_dot2acc_f32_f16 v43, v115, v125
	v_dot2acc_f32_f16 v69, v116, v122
	v_dual_dot2acc_f32_f16 v68, v116, v123 :: v_dual_dot2acc_f32_f16 v19, v126, v125
	v_dual_dot2acc_f32_f16 v36, v116, v125 :: v_dual_dot2acc_f32_f16 v57, v127, v122
	v_dot2acc_f32_f16 v65, v117, v122
	v_dual_dot2acc_f32_f16 v64, v117, v123 :: v_dual_dot2acc_f32_f16 v21, v127, v124
	v_dual_dot2acc_f32_f16 v34, v117, v125 :: v_dual_dot2acc_f32_f16 v53, v127, v123
	;; [unrolled: 54-line block ×14, first 2 shown]
	ds_load_b128 v[114:117], v80 offset:15872
	v_dual_dot2acc_f32_f16 v62, v126, v119 :: v_dual_dot2acc_f32_f16 v27, v128, v124
	v_dual_dot2acc_f32_f16 v16, v126, v121 :: v_dual_dot2acc_f32_f16 v47, v128, v123
	;; [unrolled: 1-line block ×3, first 2 shown]
	v_dot2acc_f32_f16 v22, v127, v121
	v_dual_dot2acc_f32_f16 v52, v128, v118 :: v_dual_dot2acc_f32_f16 v29, v129, v125
	v_dot2acc_f32_f16 v24, v128, v121
	v_dot2acc_f32_f16 v46, v129, v118
	;; [unrolled: 1-line block ×4, first 2 shown]
	ds_load_b128 v[118:121], v81 offset:32256
	v_dot2acc_f32_f16 v60, v126, v123
	v_dot2acc_f32_f16 v18, v126, v124
	;; [unrolled: 1-line block ×7, first 2 shown]
	ds_load_b128 v[122:125], v81 offset:32512
	ds_load_b128 v[126:129], v80 offset:16128
	ds_store_2addr_stride64_b32 v3, v102, v100 offset1:2
	ds_store_2addr_stride64_b32 v3, v99, v98 offset0:4 offset1:6
	ds_store_2addr_stride64_b32 v3, v109, v108 offset0:8 offset1:10
	;; [unrolled: 1-line block ×5, first 2 shown]
	ds_store_b32 v4, v113 offset:2048
	ds_store_2addr_stride64_b32 v3, v112, v111 offset0:74 offset1:76
	ds_store_b32 v3, v110 offset:19968
	s_waitcnt lgkmcnt(11)
	v_dot2acc_f32_f16 v79, v114, v118
	v_dot2acc_f32_f16 v78, v114, v119
	;; [unrolled: 1-line block ×7, first 2 shown]
	s_waitcnt lgkmcnt(10)
	v_dual_dot2acc_f32_f16 v37, v116, v124 :: v_dual_dot2acc_f32_f16 v40, v115, v121
	v_dot2acc_f32_f16 v35, v117, v124
	v_dot2acc_f32_f16 v71, v116, v118
	s_waitcnt lgkmcnt(9)
	v_dual_dot2acc_f32_f16 v70, v116, v119 :: v_dual_dot2acc_f32_f16 v63, v126, v118
	v_dual_dot2acc_f32_f16 v38, v116, v120 :: v_dual_dot2acc_f32_f16 v59, v127, v118
	v_dot2acc_f32_f16 v39, v116, v121
	v_dot2acc_f32_f16 v67, v117, v118
	v_dual_dot2acc_f32_f16 v66, v117, v119 :: v_dual_dot2acc_f32_f16 v17, v126, v120
	v_dot2acc_f32_f16 v31, v117, v120
	v_dual_dot2acc_f32_f16 v30, v117, v121 :: v_dual_dot2acc_f32_f16 v23, v127, v120
	;; [unrolled: 2-line block ×5, first 2 shown]
	v_dual_dot2acc_f32_f16 v42, v115, v124 :: v_dual_dot2acc_f32_f16 v61, v126, v122
	v_dot2acc_f32_f16 v43, v115, v125
	v_dot2acc_f32_f16 v69, v116, v122
	v_dual_dot2acc_f32_f16 v68, v116, v123 :: v_dual_dot2acc_f32_f16 v19, v126, v125
	v_dual_dot2acc_f32_f16 v36, v116, v125 :: v_dual_dot2acc_f32_f16 v57, v127, v122
	v_dot2acc_f32_f16 v65, v117, v122
	v_dual_dot2acc_f32_f16 v64, v117, v123 :: v_dual_dot2acc_f32_f16 v21, v127, v124
	v_dual_dot2acc_f32_f16 v34, v117, v125 :: v_dual_dot2acc_f32_f16 v53, v127, v123
	;; [unrolled: 1-line block ×5, first 2 shown]
	v_dot2acc_f32_f16 v22, v127, v121
	v_dual_dot2acc_f32_f16 v52, v128, v118 :: v_dual_dot2acc_f32_f16 v29, v129, v125
	v_dot2acc_f32_f16 v24, v128, v121
	v_dot2acc_f32_f16 v46, v129, v118
	;; [unrolled: 1-line block ×11, first 2 shown]
	s_cbranch_scc1 .LBB10_1
; %bb.2:
	s_waitcnt lgkmcnt(0)
	s_barrier
	buffer_gl0_inv
	ds_load_b128 v[0:3], v80
	ds_load_b128 v[4:7], v81 offset:16384
	ds_load_b128 v[8:11], v81 offset:16640
	ds_load_b128 v[84:87], v81 offset:16896
	ds_load_b128 v[12:15], v80 offset:256
	ds_load_b128 v[88:91], v80 offset:5376
	v_lshl_add_u32 v83, s51, 7, v83
	s_load_b64 s[0:1], s[0:1], 0x10
	v_lshl_add_u32 v82, s56, 7, v82
	s_lshl_b64 s[2:3], s[22:23], 1
	s_mul_i32 s6, s20, s70
	s_mul_hi_u32 s7, s20, s69
	s_add_u32 s4, s60, s2
	s_mul_i32 s8, s21, s69
	s_addc_u32 s5, s61, s3
	s_add_i32 s3, s7, s6
	s_mul_i32 s2, s20, s69
	s_add_i32 s3, s3, s8
	v_cmp_gt_i32_e32 vcc_lo, s33, v82
	s_lshl_b64 s[2:3], s[2:3], 1
	s_waitcnt lgkmcnt(0)
	v_dual_dot2acc_f32_f16 v79, v0, v4 :: v_dual_dot2acc_f32_f16 v74, v1, v5
	v_dual_dot2acc_f32_f16 v78, v0, v5 :: v_dual_dot2acc_f32_f16 v75, v1, v4
	;; [unrolled: 1-line block ×16, first 2 shown]
	ds_load_b128 v[0:3], v80 offset:512
	v_dual_dot2acc_f32_f16 v63, v12, v4 :: v_dual_dot2acc_f32_f16 v58, v13, v5
	v_dual_dot2acc_f32_f16 v62, v12, v5 :: v_dual_dot2acc_f32_f16 v59, v13, v4
	v_dual_dot2acc_f32_f16 v17, v12, v6 :: v_dual_dot2acc_f32_f16 v22, v13, v7
	v_dual_dot2acc_f32_f16 v16, v12, v7 :: v_dual_dot2acc_f32_f16 v23, v13, v6
	v_dual_dot2acc_f32_f16 v52, v14, v4 :: v_dual_dot2acc_f32_f16 v33, v15, v7
	v_dual_dot2acc_f32_f16 v51, v14, v5 :: v_dual_dot2acc_f32_f16 v46, v15, v4
	v_dual_dot2acc_f32_f16 v25, v14, v6 :: v_dual_dot2acc_f32_f16 v54, v15, v5
	v_dual_dot2acc_f32_f16 v24, v14, v7 :: v_dual_dot2acc_f32_f16 v61, v12, v8
	v_dual_dot2acc_f32_f16 v32, v15, v6 :: v_dual_dot2acc_f32_f16 v19, v12, v11
	v_dual_dot2acc_f32_f16 v60, v12, v9 :: v_dual_dot2acc_f32_f16 v57, v13, v8
	v_dual_dot2acc_f32_f16 v18, v12, v10 :: v_dual_dot2acc_f32_f16 v53, v13, v9
	v_dual_dot2acc_f32_f16 v21, v13, v10 :: v_dual_dot2acc_f32_f16 v48, v14, v8
	v_dual_dot2acc_f32_f16 v20, v13, v11 :: v_dual_dot2acc_f32_f16 v47, v14, v9
	v_dual_dot2acc_f32_f16 v27, v14, v10 :: v_dual_dot2acc_f32_f16 v56, v15, v9
	v_dual_dot2acc_f32_f16 v26, v14, v11 :: v_dual_dot2acc_f32_f16 v55, v15, v8
	ds_load_b128 v[4:7], v81 offset:17152
	s_waitcnt lgkmcnt(1)
	v_dual_dot2acc_f32_f16 v28, v15, v10 :: v_dual_dot2acc_f32_f16 v79, v0, v84
	v_dual_dot2acc_f32_f16 v29, v15, v11 :: v_dual_dot2acc_f32_f16 v78, v0, v85
	ds_load_b128 v[8:11], v80 offset:768
	v_dual_dot2acc_f32_f16 v50, v0, v86 :: v_dual_dot2acc_f32_f16 v75, v1, v84
	v_dual_dot2acc_f32_f16 v49, v0, v87 :: v_dual_dot2acc_f32_f16 v74, v1, v85
	v_dual_dot2acc_f32_f16 v41, v1, v86 :: v_dual_dot2acc_f32_f16 v70, v2, v85
	v_dual_dot2acc_f32_f16 v40, v1, v87 :: v_dual_dot2acc_f32_f16 v71, v2, v84
	v_dual_dot2acc_f32_f16 v38, v2, v86 :: v_dual_dot2acc_f32_f16 v67, v3, v84
	v_dual_dot2acc_f32_f16 v39, v2, v87 :: v_dual_dot2acc_f32_f16 v66, v3, v85
	ds_load_b128 v[12:15], v81 offset:17408
	s_waitcnt lgkmcnt(2)
	v_dual_dot2acc_f32_f16 v31, v3, v86 :: v_dual_dot2acc_f32_f16 v76, v0, v5
	v_dual_dot2acc_f32_f16 v30, v3, v87 :: v_dual_dot2acc_f32_f16 v77, v0, v4
	v_dual_dot2acc_f32_f16 v45, v0, v6 :: v_dual_dot2acc_f32_f16 v72, v1, v5
	v_dual_dot2acc_f32_f16 v44, v0, v7 :: v_dual_dot2acc_f32_f16 v73, v1, v4
	v_dual_dot2acc_f32_f16 v42, v1, v6 :: v_dual_dot2acc_f32_f16 v69, v2, v4
	v_dual_dot2acc_f32_f16 v43, v1, v7 :: v_dual_dot2acc_f32_f16 v68, v2, v5
	v_dual_dot2acc_f32_f16 v37, v2, v6 :: v_dual_dot2acc_f32_f16 v64, v3, v5
	v_dual_dot2acc_f32_f16 v36, v2, v7 :: v_dual_dot2acc_f32_f16 v65, v3, v4
	v_dot2acc_f32_f16 v35, v3, v6
	v_dot2acc_f32_f16 v34, v3, v7
	ds_load_b128 v[0:3], v80 offset:1024
	s_waitcnt lgkmcnt(2)
	v_dot2acc_f32_f16 v63, v8, v84
	v_dot2acc_f32_f16 v62, v8, v85
	v_dual_dot2acc_f32_f16 v17, v8, v86 :: v_dual_dot2acc_f32_f16 v58, v9, v85
	v_dual_dot2acc_f32_f16 v16, v8, v87 :: v_dual_dot2acc_f32_f16 v59, v9, v84
	v_dual_dot2acc_f32_f16 v23, v9, v86 :: v_dual_dot2acc_f32_f16 v52, v10, v84
	v_dual_dot2acc_f32_f16 v22, v9, v87 :: v_dual_dot2acc_f32_f16 v51, v10, v85
	v_dual_dot2acc_f32_f16 v25, v10, v86 :: v_dual_dot2acc_f32_f16 v46, v11, v84
	v_dual_dot2acc_f32_f16 v24, v10, v87 :: v_dual_dot2acc_f32_f16 v61, v8, v4
	v_dual_dot2acc_f32_f16 v54, v11, v85 :: v_dual_dot2acc_f32_f16 v19, v8, v7
	v_dual_dot2acc_f32_f16 v32, v11, v86 :: v_dual_dot2acc_f32_f16 v57, v9, v4
	v_dual_dot2acc_f32_f16 v33, v11, v87 :: v_dual_dot2acc_f32_f16 v60, v8, v5
	v_dual_dot2acc_f32_f16 v18, v8, v6 :: v_dual_dot2acc_f32_f16 v53, v9, v5
	v_dual_dot2acc_f32_f16 v21, v9, v6 :: v_dual_dot2acc_f32_f16 v48, v10, v4
	v_dual_dot2acc_f32_f16 v20, v9, v7 :: v_dual_dot2acc_f32_f16 v47, v10, v5
	v_dual_dot2acc_f32_f16 v27, v10, v6 :: v_dual_dot2acc_f32_f16 v56, v11, v5
	v_dual_dot2acc_f32_f16 v26, v10, v7 :: v_dual_dot2acc_f32_f16 v55, v11, v4
	ds_load_b128 v[84:87], v81 offset:17664
	s_waitcnt lgkmcnt(1)
	v_dual_dot2acc_f32_f16 v28, v11, v6 :: v_dual_dot2acc_f32_f16 v79, v0, v12
	v_dual_dot2acc_f32_f16 v29, v11, v7 :: v_dual_dot2acc_f32_f16 v78, v0, v13
	ds_load_b128 v[4:7], v80 offset:1280
	v_dual_dot2acc_f32_f16 v50, v0, v14 :: v_dual_dot2acc_f32_f16 v75, v1, v12
	v_dual_dot2acc_f32_f16 v49, v0, v15 :: v_dual_dot2acc_f32_f16 v74, v1, v13
	v_dual_dot2acc_f32_f16 v41, v1, v14 :: v_dual_dot2acc_f32_f16 v70, v2, v13
	v_dual_dot2acc_f32_f16 v40, v1, v15 :: v_dual_dot2acc_f32_f16 v71, v2, v12
	v_dual_dot2acc_f32_f16 v38, v2, v14 :: v_dual_dot2acc_f32_f16 v67, v3, v12
	v_dual_dot2acc_f32_f16 v39, v2, v15 :: v_dual_dot2acc_f32_f16 v66, v3, v13
	ds_load_b128 v[8:11], v81 offset:17920
	s_waitcnt lgkmcnt(2)
	v_dual_dot2acc_f32_f16 v31, v3, v14 :: v_dual_dot2acc_f32_f16 v76, v0, v85
	v_dual_dot2acc_f32_f16 v30, v3, v15 :: v_dual_dot2acc_f32_f16 v77, v0, v84
	v_dual_dot2acc_f32_f16 v45, v0, v86 :: v_dual_dot2acc_f32_f16 v72, v1, v85
	v_dual_dot2acc_f32_f16 v44, v0, v87 :: v_dual_dot2acc_f32_f16 v73, v1, v84
	v_dual_dot2acc_f32_f16 v42, v1, v86 :: v_dual_dot2acc_f32_f16 v69, v2, v84
	v_dual_dot2acc_f32_f16 v43, v1, v87 :: v_dual_dot2acc_f32_f16 v68, v2, v85
	v_dual_dot2acc_f32_f16 v37, v2, v86 :: v_dual_dot2acc_f32_f16 v64, v3, v85
	v_dual_dot2acc_f32_f16 v36, v2, v87 :: v_dual_dot2acc_f32_f16 v65, v3, v84
	v_dot2acc_f32_f16 v35, v3, v86
	v_dot2acc_f32_f16 v34, v3, v87
	ds_load_b128 v[0:3], v80 offset:1536
	s_waitcnt lgkmcnt(2)
	v_dot2acc_f32_f16 v63, v4, v12
	v_dot2acc_f32_f16 v62, v4, v13
	v_dual_dot2acc_f32_f16 v17, v4, v14 :: v_dual_dot2acc_f32_f16 v58, v5, v13
	v_dual_dot2acc_f32_f16 v16, v4, v15 :: v_dual_dot2acc_f32_f16 v59, v5, v12
	v_dual_dot2acc_f32_f16 v23, v5, v14 :: v_dual_dot2acc_f32_f16 v52, v6, v12
	v_dual_dot2acc_f32_f16 v22, v5, v15 :: v_dual_dot2acc_f32_f16 v51, v6, v13
	v_dual_dot2acc_f32_f16 v25, v6, v14 :: v_dual_dot2acc_f32_f16 v46, v7, v12
	v_dual_dot2acc_f32_f16 v24, v6, v15 :: v_dual_dot2acc_f32_f16 v61, v4, v84
	v_dual_dot2acc_f32_f16 v54, v7, v13 :: v_dual_dot2acc_f32_f16 v19, v4, v87
	v_dual_dot2acc_f32_f16 v32, v7, v14 :: v_dual_dot2acc_f32_f16 v57, v5, v84
	v_dual_dot2acc_f32_f16 v33, v7, v15 :: v_dual_dot2acc_f32_f16 v60, v4, v85
	v_dual_dot2acc_f32_f16 v18, v4, v86 :: v_dual_dot2acc_f32_f16 v53, v5, v85
	v_dual_dot2acc_f32_f16 v21, v5, v86 :: v_dual_dot2acc_f32_f16 v48, v6, v84
	v_dual_dot2acc_f32_f16 v20, v5, v87 :: v_dual_dot2acc_f32_f16 v47, v6, v85
	v_dual_dot2acc_f32_f16 v27, v6, v86 :: v_dual_dot2acc_f32_f16 v56, v7, v85
	v_dual_dot2acc_f32_f16 v26, v6, v87 :: v_dual_dot2acc_f32_f16 v55, v7, v84
	;; [unrolled: 41-line block ×8, first 2 shown]
	ds_load_b128 v[12:15], v81 offset:21248
	s_waitcnt lgkmcnt(1)
	v_dual_dot2acc_f32_f16 v28, v7, v86 :: v_dual_dot2acc_f32_f16 v79, v0, v8
	v_dual_dot2acc_f32_f16 v29, v7, v87 :: v_dual_dot2acc_f32_f16 v78, v0, v9
	ds_load_b128 v[4:7], v80 offset:4864
	v_dual_dot2acc_f32_f16 v50, v0, v10 :: v_dual_dot2acc_f32_f16 v75, v1, v8
	v_dual_dot2acc_f32_f16 v49, v0, v11 :: v_dual_dot2acc_f32_f16 v74, v1, v9
	;; [unrolled: 1-line block ×6, first 2 shown]
	ds_load_b128 v[84:87], v81 offset:21504
	s_waitcnt lgkmcnt(2)
	v_dual_dot2acc_f32_f16 v31, v3, v10 :: v_dual_dot2acc_f32_f16 v76, v0, v13
	v_dual_dot2acc_f32_f16 v30, v3, v11 :: v_dual_dot2acc_f32_f16 v77, v0, v12
	;; [unrolled: 1-line block ×8, first 2 shown]
	v_dot2acc_f32_f16 v35, v3, v14
	v_dot2acc_f32_f16 v34, v3, v15
	ds_load_b128 v[0:3], v80 offset:5120
	s_waitcnt lgkmcnt(2)
	v_dot2acc_f32_f16 v63, v4, v8
	v_dot2acc_f32_f16 v62, v4, v9
	v_dual_dot2acc_f32_f16 v17, v4, v10 :: v_dual_dot2acc_f32_f16 v58, v5, v9
	v_dual_dot2acc_f32_f16 v16, v4, v11 :: v_dual_dot2acc_f32_f16 v59, v5, v8
	;; [unrolled: 1-line block ×9, first 2 shown]
	ds_load_b128 v[8:11], v81 offset:21760
	v_dual_dot2acc_f32_f16 v18, v4, v14 :: v_dual_dot2acc_f32_f16 v53, v5, v13
	v_dual_dot2acc_f32_f16 v21, v5, v14 :: v_dual_dot2acc_f32_f16 v48, v6, v12
	;; [unrolled: 1-line block ×5, first 2 shown]
	s_waitcnt lgkmcnt(1)
	v_dual_dot2acc_f32_f16 v28, v7, v14 :: v_dual_dot2acc_f32_f16 v79, v0, v84
	v_dual_dot2acc_f32_f16 v29, v7, v15 :: v_dual_dot2acc_f32_f16 v78, v0, v85
	;; [unrolled: 1-line block ×8, first 2 shown]
	ds_load_b128 v[12:15], v81 offset:22016
	s_waitcnt lgkmcnt(1)
	v_dual_dot2acc_f32_f16 v31, v3, v86 :: v_dual_dot2acc_f32_f16 v76, v0, v9
	v_dual_dot2acc_f32_f16 v30, v3, v87 :: v_dual_dot2acc_f32_f16 v77, v0, v8
	;; [unrolled: 1-line block ×8, first 2 shown]
	v_dot2acc_f32_f16 v35, v3, v10
	v_dot2acc_f32_f16 v34, v3, v11
	ds_load_b128 v[0:3], v80 offset:5632
	v_dual_dot2acc_f32_f16 v63, v88, v84 :: v_dual_dot2acc_f32_f16 v24, v90, v87
	v_dual_dot2acc_f32_f16 v61, v88, v8 :: v_dual_dot2acc_f32_f16 v54, v91, v85
	;; [unrolled: 1-line block ×3, first 2 shown]
	v_dot2acc_f32_f16 v57, v89, v8
	v_dual_dot2acc_f32_f16 v33, v91, v87 :: v_dual_dot2acc_f32_f16 v60, v88, v9
	v_dual_dot2acc_f32_f16 v18, v88, v10 :: v_dual_dot2acc_f32_f16 v53, v89, v9
	;; [unrolled: 1-line block ×6, first 2 shown]
	ds_load_b128 v[4:7], v81 offset:22272
	s_waitcnt lgkmcnt(1)
	v_dual_dot2acc_f32_f16 v28, v91, v10 :: v_dual_dot2acc_f32_f16 v79, v0, v12
	v_dual_dot2acc_f32_f16 v29, v91, v11 :: v_dual_dot2acc_f32_f16 v78, v0, v13
	ds_load_b128 v[8:11], v80 offset:5888
	v_dual_dot2acc_f32_f16 v16, v88, v87 :: v_dual_dot2acc_f32_f16 v59, v89, v84
	v_dual_dot2acc_f32_f16 v23, v89, v86 :: v_dual_dot2acc_f32_f16 v52, v90, v84
	;; [unrolled: 1-line block ×3, first 2 shown]
	v_mul_lo_u32 v84, v83, s58
	v_dot2acc_f32_f16 v62, v88, v85
	v_dual_dot2acc_f32_f16 v17, v88, v86 :: v_dual_dot2acc_f32_f16 v58, v89, v85
	v_dual_dot2acc_f32_f16 v22, v89, v87 :: v_dual_dot2acc_f32_f16 v51, v90, v85
	;; [unrolled: 1-line block ×3, first 2 shown]
	v_mad_u64_u32 v[85:86], null, v82, s59, v[84:85]
	v_dual_dot2acc_f32_f16 v49, v0, v15 :: v_dual_dot2acc_f32_f16 v74, v1, v13
	v_dual_dot2acc_f32_f16 v41, v1, v14 :: v_dual_dot2acc_f32_f16 v70, v2, v13
	;; [unrolled: 1-line block ×5, first 2 shown]
	s_waitcnt lgkmcnt(1)
	v_dual_dot2acc_f32_f16 v31, v3, v14 :: v_dual_dot2acc_f32_f16 v76, v0, v5
	v_dual_dot2acc_f32_f16 v30, v3, v15 :: v_dual_dot2acc_f32_f16 v77, v0, v4
	;; [unrolled: 1-line block ×8, first 2 shown]
	v_dot2acc_f32_f16 v35, v3, v6
	v_dot2acc_f32_f16 v34, v3, v7
	ds_load_b128 v[0:3], v80 offset:6144
	s_waitcnt lgkmcnt(1)
	v_dot2acc_f32_f16 v63, v8, v12
	v_dot2acc_f32_f16 v62, v8, v13
	v_dual_dot2acc_f32_f16 v17, v8, v14 :: v_dual_dot2acc_f32_f16 v58, v9, v13
	v_dual_dot2acc_f32_f16 v16, v8, v15 :: v_dual_dot2acc_f32_f16 v59, v9, v12
	;; [unrolled: 1-line block ×9, first 2 shown]
	ds_load_b128 v[12:15], v81 offset:22528
	v_dual_dot2acc_f32_f16 v18, v8, v6 :: v_dual_dot2acc_f32_f16 v53, v9, v5
	v_dual_dot2acc_f32_f16 v21, v9, v6 :: v_dual_lshlrev_b32 v8, 1, v85
	s_add_u32 s0, s0, s2
	s_addc_u32 s1, s1, s3
	s_lshl_b32 s2, s54, 1
	s_mov_b32 s3, 0x31004000
	s_lshl_b32 s6, s59, 6
	buffer_load_b64 v[88:89], v8, s[0:3], 0 offen
	v_add_lshl_u32 v8, v85, s6, 1
	v_add_nc_u32_e32 v84, s58, v85
	v_dual_dot2acc_f32_f16 v20, v9, v7 :: v_dual_dot2acc_f32_f16 v47, v10, v5
	v_dual_dot2acc_f32_f16 v48, v10, v4 :: v_dual_dot2acc_f32_f16 v29, v11, v7
	buffer_load_b64 v[90:91], v8, s[0:3], 0 offen
	v_dual_dot2acc_f32_f16 v27, v10, v6 :: v_dual_dot2acc_f32_f16 v56, v11, v5
	s_waitcnt lgkmcnt(0)
	v_dual_dot2acc_f32_f16 v79, v0, v12 :: v_dual_dot2acc_f32_f16 v28, v11, v6
	v_dual_dot2acc_f32_f16 v26, v10, v7 :: v_dual_lshlrev_b32 v85, 1, v84
	v_dot2acc_f32_f16 v55, v11, v4
	ds_load_b128 v[4:7], v81 offset:22784
	ds_load_b128 v[8:11], v80 offset:6400
	v_dot2acc_f32_f16 v39, v2, v15
	buffer_load_b64 v[92:93], v85, s[0:3], 0 offen
	v_add_lshl_u32 v85, v84, s6, 1
	v_add_nc_u32_e32 v84, s58, v84
	v_dot2acc_f32_f16 v66, v3, v13
	v_dual_dot2acc_f32_f16 v78, v0, v13 :: v_dual_dot2acc_f32_f16 v75, v1, v12
	buffer_load_b64 v[94:95], v85, s[0:3], 0 offen
	v_dual_dot2acc_f32_f16 v50, v0, v14 :: v_dual_lshlrev_b32 v85, 1, v84
	v_dot2acc_f32_f16 v71, v2, v12
	v_dual_dot2acc_f32_f16 v49, v0, v15 :: v_dual_dot2acc_f32_f16 v74, v1, v13
	buffer_load_b64 v[96:97], v85, s[0:3], 0 offen
	v_dot2acc_f32_f16 v38, v2, v14
	v_dot2acc_f32_f16 v31, v3, v14
	v_dual_dot2acc_f32_f16 v30, v3, v15 :: v_dual_dot2acc_f32_f16 v41, v1, v14
	s_waitcnt lgkmcnt(1)
	v_dual_dot2acc_f32_f16 v70, v2, v13 :: v_dual_dot2acc_f32_f16 v77, v0, v4
	v_dot2acc_f32_f16 v76, v0, v5
	v_dot2acc_f32_f16 v45, v0, v6
	v_dual_dot2acc_f32_f16 v44, v0, v7 :: v_dual_dot2acc_f32_f16 v73, v1, v4
	v_add_lshl_u32 v0, v84, s6, 1
	s_waitcnt lgkmcnt(0)
	v_dual_dot2acc_f32_f16 v17, v8, v14 :: v_dual_add_nc_u32 v84, s58, v84
	v_dot2acc_f32_f16 v62, v8, v13
	v_dual_dot2acc_f32_f16 v34, v3, v7 :: v_dual_dot2acc_f32_f16 v63, v8, v12
	buffer_load_b64 v[98:99], v0, s[0:3], 0 offen
	v_dual_dot2acc_f32_f16 v16, v8, v15 :: v_dual_lshlrev_b32 v85, 1, v84
	v_dual_dot2acc_f32_f16 v59, v9, v12 :: v_dual_dot2acc_f32_f16 v24, v10, v15
	v_dot2acc_f32_f16 v61, v8, v4
	buffer_load_b64 v[100:101], v85, s[0:3], 0 offen
	v_add_lshl_u32 v85, v84, s6, 1
	v_dual_dot2acc_f32_f16 v46, v11, v12 :: v_dual_dot2acc_f32_f16 v19, v8, v7
	v_dual_dot2acc_f32_f16 v60, v8, v5 :: v_dual_dot2acc_f32_f16 v21, v9, v6
	buffer_load_b64 v[102:103], v85, s[0:3], 0 offen
	v_mad_u64_u32 v[85:86], null, s58, 61, v[84:85]
	v_dual_dot2acc_f32_f16 v33, v11, v15 :: v_dual_dot2acc_f32_f16 v18, v8, v6
	v_dual_dot2acc_f32_f16 v47, v10, v5 :: v_dual_dot2acc_f32_f16 v40, v1, v15
	;; [unrolled: 1-line block ×3, first 2 shown]
	s_delay_alu instid0(VALU_DEP_4)
	v_dual_dot2acc_f32_f16 v69, v2, v4 :: v_dual_lshlrev_b32 v84, 1, v85
	v_add_lshl_u32 v8, v85, s6, 1
	v_dual_dot2acc_f32_f16 v42, v1, v6 :: v_dual_dot2acc_f32_f16 v65, v3, v4
	v_dual_dot2acc_f32_f16 v43, v1, v7 :: v_dual_dot2acc_f32_f16 v68, v2, v5
	;; [unrolled: 1-line block ×9, first 2 shown]
	ds_load_b128 v[12:15], v81 offset:23040
	s_clause 0x1
	buffer_load_b64 v[104:105], v84, s[0:3], 0 offen
	buffer_load_b64 v[106:107], v8, s[0:3], 0 offen
	ds_load_b128 v[0:3], v80 offset:6656
	v_dual_dot2acc_f32_f16 v20, v9, v7 :: v_dual_dot2acc_f32_f16 v27, v10, v6
	v_dual_dot2acc_f32_f16 v48, v10, v4 :: v_dual_dot2acc_f32_f16 v29, v11, v7
	;; [unrolled: 1-line block ×3, first 2 shown]
	v_dot2acc_f32_f16 v56, v11, v5
	v_dot2acc_f32_f16 v28, v11, v6
	ds_load_b128 v[4:7], v81 offset:23296
	ds_load_b128 v[8:11], v80 offset:6912
	v_add_nc_u32_e32 v84, s58, v85
	s_mov_b32 s7, s3
	s_add_i32 s8, s35, s34
	s_waitcnt lgkmcnt(2)
	v_dot2acc_f32_f16 v79, v0, v12
	v_lshlrev_b32_e32 v85, 1, v84
	v_dual_dot2acc_f32_f16 v31, v3, v14 :: v_dual_dot2acc_f32_f16 v78, v0, v13
	v_dual_dot2acc_f32_f16 v75, v1, v12 :: v_dual_dot2acc_f32_f16 v50, v0, v14
	v_dot2acc_f32_f16 v71, v2, v12
	buffer_load_b64 v[108:109], v85, s[0:3], 0 offen
	v_add_lshl_u32 v85, v84, s6, 1
	v_add_nc_u32_e32 v84, s58, v84
	v_dual_dot2acc_f32_f16 v38, v2, v14 :: v_dual_dot2acc_f32_f16 v49, v0, v15
	s_waitcnt lgkmcnt(1)
	v_dual_dot2acc_f32_f16 v66, v3, v13 :: v_dual_dot2acc_f32_f16 v77, v0, v4
	buffer_load_b64 v[110:111], v85, s[0:3], 0 offen
	v_dual_dot2acc_f32_f16 v30, v3, v15 :: v_dual_lshlrev_b32 v85, 1, v84
	v_dot2acc_f32_f16 v45, v0, v6
	v_dual_dot2acc_f32_f16 v76, v0, v5 :: v_dual_dot2acc_f32_f16 v73, v1, v4
	buffer_load_b64 v[112:113], v85, s[0:3], 0 offen
	v_dual_dot2acc_f32_f16 v44, v0, v7 :: v_dual_dot2acc_f32_f16 v69, v2, v4
	v_add_lshl_u32 v0, v84, s6, 1
	s_waitcnt lgkmcnt(0)
	v_dual_dot2acc_f32_f16 v17, v8, v14 :: v_dual_add_nc_u32 v84, s58, v84
	v_dot2acc_f32_f16 v34, v3, v7
	v_dual_dot2acc_f32_f16 v74, v1, v13 :: v_dual_dot2acc_f32_f16 v39, v2, v15
	buffer_load_b64 v[114:115], v0, s[0:3], 0 offen
	v_lshlrev_b32_e32 v85, 1, v84
	v_add_lshl_u32 v84, v84, s6, 1
	v_dual_dot2acc_f32_f16 v41, v1, v14 :: v_dual_dot2acc_f32_f16 v70, v2, v13
	v_dual_dot2acc_f32_f16 v40, v1, v15 :: v_dual_dot2acc_f32_f16 v67, v3, v12
	s_clause 0x1
	buffer_load_b64 v[116:117], v85, s[0:3], 0 offen
	buffer_load_b64 v[118:119], v84, s[0:3], 0 offen
	v_dual_dot2acc_f32_f16 v72, v1, v5 :: v_dual_dot2acc_f32_f16 v37, v2, v6
	v_dual_dot2acc_f32_f16 v42, v1, v6 :: v_dual_dot2acc_f32_f16 v65, v3, v4
	;; [unrolled: 1-line block ×5, first 2 shown]
	ds_load_b128 v[0:3], v80 offset:7168
	v_dual_dot2acc_f32_f16 v62, v8, v13 :: v_dual_dot2acc_f32_f16 v59, v9, v12
	v_dual_dot2acc_f32_f16 v16, v8, v15 :: v_dual_dot2acc_f32_f16 v23, v9, v14
	;; [unrolled: 1-line block ×9, first 2 shown]
	ds_load_b128 v[84:87], v81 offset:23552
	ds_load_b128 v[12:15], v81 offset:23808
	v_dual_dot2acc_f32_f16 v60, v8, v5 :: v_dual_dot2acc_f32_f16 v21, v9, v6
	v_dual_dot2acc_f32_f16 v18, v8, v6 :: v_dual_dot2acc_f32_f16 v47, v10, v5
	;; [unrolled: 1-line block ×5, first 2 shown]
	v_dot2acc_f32_f16 v56, v11, v5
	v_dot2acc_f32_f16 v28, v11, v6
	ds_load_b128 v[4:7], v80 offset:7424
	ds_load_b128 v[8:11], v81 offset:24064
	v_cmp_gt_i32_e64 s0, s31, v83
	s_lshl_b32 s6, s52, 1
	s_waitcnt lgkmcnt(3)
	v_dot2acc_f32_f16 v79, v0, v84
	v_dual_dot2acc_f32_f16 v78, v0, v85 :: v_dual_dot2acc_f32_f16 v75, v1, v84
	v_dual_dot2acc_f32_f16 v50, v0, v86 :: v_dual_dot2acc_f32_f16 v71, v2, v84
	;; [unrolled: 1-line block ×3, first 2 shown]
	v_dot2acc_f32_f16 v39, v2, v87
	v_dual_dot2acc_f32_f16 v41, v1, v86 :: v_dual_dot2acc_f32_f16 v70, v2, v85
	v_dual_dot2acc_f32_f16 v40, v1, v87 :: v_dual_dot2acc_f32_f16 v67, v3, v84
	s_waitcnt lgkmcnt(2)
	v_dual_dot2acc_f32_f16 v38, v2, v86 :: v_dual_dot2acc_f32_f16 v77, v0, v12
	v_dual_dot2acc_f32_f16 v66, v3, v85 :: v_dual_dot2acc_f32_f16 v45, v0, v14
	;; [unrolled: 1-line block ×9, first 2 shown]
	s_waitcnt lgkmcnt(1)
	v_dual_dot2acc_f32_f16 v64, v3, v13 :: v_dual_dot2acc_f32_f16 v63, v4, v84
	v_dual_dot2acc_f32_f16 v34, v3, v15 :: v_dual_dot2acc_f32_f16 v17, v4, v86
	ds_load_b128 v[0:3], v80 offset:7680
	v_dual_dot2acc_f32_f16 v62, v4, v85 :: v_dual_dot2acc_f32_f16 v59, v5, v84
	v_dual_dot2acc_f32_f16 v16, v4, v87 :: v_dual_dot2acc_f32_f16 v23, v5, v86
	;; [unrolled: 1-line block ×14, first 2 shown]
	ds_load_b128 v[84:87], v81 offset:24320
	v_dot2acc_f32_f16 v56, v7, v13
	v_dot2acc_f32_f16 v28, v7, v14
	ds_load_b128 v[4:7], v80 offset:7936
	s_waitcnt lgkmcnt(2)
	v_dot2acc_f32_f16 v49, v0, v11
	v_add_nc_u32_e32 v15, 64, v82
	s_and_b32 s1, s0, vcc_lo
	v_dot2acc_f32_f16 v79, v0, v8
	v_dual_dot2acc_f32_f16 v78, v0, v9 :: v_dual_dot2acc_f32_f16 v75, v1, v8
	v_dual_dot2acc_f32_f16 v50, v0, v10 :: v_dual_dot2acc_f32_f16 v71, v2, v8
	v_dot2acc_f32_f16 v38, v2, v10
	v_dot2acc_f32_f16 v66, v3, v9
	v_dual_dot2acc_f32_f16 v31, v3, v10 :: v_dual_dot2acc_f32_f16 v74, v1, v9
	v_dot2acc_f32_f16 v39, v2, v11
	v_dual_dot2acc_f32_f16 v41, v1, v10 :: v_dual_dot2acc_f32_f16 v70, v2, v9
	v_or_b32_e32 v81, 1, v83
	s_waitcnt lgkmcnt(1)
	v_dot2acc_f32_f16 v77, v0, v84
	v_dot2acc_f32_f16 v76, v0, v85
	s_waitcnt lgkmcnt(0)
	v_dual_dot2acc_f32_f16 v45, v0, v86 :: v_dual_dot2acc_f32_f16 v48, v6, v84
	v_dual_dot2acc_f32_f16 v44, v0, v87 :: v_dual_dot2acc_f32_f16 v69, v2, v84
	;; [unrolled: 1-line block ×19, first 2 shown]
	s_waitcnt vmcnt(15)
	v_cndmask_b32_e64 v12, 0, v89, s1
	v_cndmask_b32_e64 v0, 0, v88, s1
	v_cmp_gt_i32_e64 s1, s33, v15
	v_or_b32_e32 v88, 3, v83
	v_dual_dot2acc_f32_f16 v20, v5, v87 :: v_dual_dot2acc_f32_f16 v27, v6, v86
	s_delay_alu instid0(VALU_DEP_4) | instskip(NEXT) | instid1(VALU_DEP_4)
	v_lshrrev_b32_e32 v1, 16, v0
	s_and_b32 s0, s0, s1
	v_cvt_f32_f16_e32 v0, v0
	s_waitcnt vmcnt(14)
	v_cndmask_b32_e64 v2, 0, v90, s0
	v_cndmask_b32_e64 v80, 0, v91, s0
	v_cmp_gt_i32_e64 s0, s31, v81
	v_cvt_f32_f16_e32 v1, v1
	v_dot2acc_f32_f16 v28, v7, v86
	v_cvt_f32_f16_e32 v3, v2
	v_lshrrev_b32_e32 v2, 16, v2
	v_dot2acc_f32_f16 v56, v7, v85
	s_and_b32 s2, s0, vcc_lo
	s_and_b32 s0, s0, s1
	v_dual_add_f32 v3, v77, v3 :: v_dual_add_f32 v0, v79, v0
	v_cvt_f32_f16_e32 v2, v2
	v_add_f32_e32 v1, v78, v1
	s_waitcnt vmcnt(13)
	v_cndmask_b32_e64 v4, 0, v92, s2
	v_max_f32_e32 v79, 0, v3
	v_dual_dot2acc_f32_f16 v29, v7, v87 :: v_dual_max_f32 v14, 0, v0
	v_add_f32_e32 v0, v76, v2
	s_waitcnt vmcnt(12)
	v_cndmask_b32_e64 v2, 0, v94, s0
	v_or_b32_e32 v85, 2, v83
	v_cndmask_b32_e64 v76, 0, v95, s0
	v_cndmask_b32_e64 v77, 0, v93, s2
	v_dual_dot2acc_f32_f16 v58, v5, v9 :: v_dual_dot2acc_f32_f16 v25, v6, v10
	v_cvt_f32_f16_e32 v3, v2
	v_max_f32_e32 v78, 0, v1
	v_lshrrev_b32_e32 v1, 16, v4
	v_cmp_gt_i32_e64 s0, s31, v85
	v_lshrrev_b32_e32 v2, 16, v2
	v_add_f32_e32 v3, v73, v3
	v_dual_dot2acc_f32_f16 v22, v5, v11 :: v_dual_dot2acc_f32_f16 v51, v6, v9
	v_cvt_f32_f16_e32 v1, v1
	s_and_b32 s2, s0, vcc_lo
	v_cvt_f32_f16_e32 v2, v2
	s_and_b32 s0, s0, s1
	s_waitcnt vmcnt(11)
	v_cndmask_b32_e64 v73, 0, v97, s2
	v_dual_add_f32 v1, v74, v1 :: v_dual_max_f32 v84, 0, v0
	v_cvt_f32_f16_e32 v0, v4
	v_cndmask_b32_e64 v4, 0, v96, s2
	v_dual_dot2acc_f32_f16 v52, v6, v8 :: v_dual_dot2acc_f32_f16 v33, v7, v11
	v_add_nc_u32_e32 v10, 0x42, v83
	s_delay_alu instid0(VALU_DEP_4) | instskip(NEXT) | instid1(VALU_DEP_4)
	v_dual_add_f32 v0, v75, v0 :: v_dual_max_f32 v75, 0, v1
	v_lshrrev_b32_e32 v1, 16, v4
	s_delay_alu instid0(VALU_DEP_1) | instskip(NEXT) | instid1(VALU_DEP_1)
	v_cvt_f32_f16_e32 v1, v1
	v_dual_add_f32 v1, v70, v1 :: v_dual_max_f32 v74, 0, v0
	v_add_f32_e32 v0, v72, v2
	s_waitcnt vmcnt(10)
	v_cndmask_b32_e64 v72, 0, v99, s0
	v_cndmask_b32_e64 v2, 0, v98, s0
	v_cmp_gt_i32_e64 s0, s31, v88
	v_dual_max_f32 v86, 0, v3 :: v_dual_max_f32 v87, 0, v0
	v_cvt_f32_f16_e32 v0, v4
	s_delay_alu instid0(VALU_DEP_4) | instskip(NEXT) | instid1(VALU_DEP_4)
	v_cvt_f32_f16_e32 v3, v2
	s_and_b32 s2, s0, vcc_lo
	v_lshrrev_b32_e32 v2, 16, v2
	s_waitcnt vmcnt(9)
	v_cndmask_b32_e64 v4, 0, v100, s2
	s_and_b32 s0, s0, s1
	v_dual_add_f32 v3, v69, v3 :: v_dual_add_f32 v0, v71, v0
	v_cvt_f32_f16_e32 v2, v2
	v_max_f32_e32 v71, 0, v1
	v_lshrrev_b32_e32 v1, 16, v4
	s_delay_alu instid0(VALU_DEP_4)
	v_max_f32_e32 v89, 0, v3
	v_cvt_f32_f16_e32 v3, v4
	v_max_f32_e32 v70, 0, v0
	v_cndmask_b32_e64 v69, 0, v101, s2
	v_cvt_f32_f16_e32 v1, v1
	v_add_f32_e32 v0, v68, v2
	s_waitcnt vmcnt(8)
	v_cndmask_b32_e64 v2, 0, v102, s0
	v_add_f32_e32 v3, v67, v3
	v_cndmask_b32_e64 v68, 0, v103, s0
	v_dual_add_f32 v5, v66, v1 :: v_dual_max_f32 v90, 0, v0
	s_delay_alu instid0(VALU_DEP_4) | instskip(SKIP_1) | instid1(VALU_DEP_2)
	v_cvt_f32_f16_e32 v4, v2
	v_lshrrev_b32_e32 v2, 16, v2
	v_add_f32_e32 v4, v65, v4
	v_add_nc_u32_e32 v0, 64, v83
	s_delay_alu instid0(VALU_DEP_3) | instskip(SKIP_1) | instid1(VALU_DEP_4)
	v_cvt_f32_f16_e32 v2, v2
	v_max_f32_e32 v65, 0, v3
	v_max_f32_e32 v67, 0, v4
	s_delay_alu instid0(VALU_DEP_4) | instskip(NEXT) | instid1(VALU_DEP_4)
	v_cmp_gt_i32_e64 s0, s31, v0
	v_add_f32_e32 v2, v64, v2
	v_add_nc_u32_e32 v4, 0x41, v83
	s_delay_alu instid0(VALU_DEP_3)
	s_and_b32 s2, s0, vcc_lo
	s_and_b32 s0, s0, s1
	s_waitcnt vmcnt(7)
	v_cndmask_b32_e64 v6, 0, v104, s2
	s_waitcnt vmcnt(6)
	v_cndmask_b32_e64 v7, 0, v106, s0
	v_max_f32_e32 v64, 0, v2
	v_cndmask_b32_e64 v1, 0, v105, s2
	v_lshrrev_b32_e32 v3, 16, v6
	v_cvt_f32_f16_e32 v2, v6
	v_cvt_f32_f16_e32 v6, v7
	v_lshrrev_b32_e32 v7, 16, v7
	s_delay_alu instid0(VALU_DEP_4) | instskip(NEXT) | instid1(VALU_DEP_4)
	v_cvt_f32_f16_e32 v3, v3
	v_add_f32_e32 v2, v63, v2
	s_delay_alu instid0(VALU_DEP_4) | instskip(NEXT) | instid1(VALU_DEP_4)
	v_add_f32_e32 v6, v61, v6
	v_cvt_f32_f16_e32 v7, v7
	v_max_f32_e32 v66, 0, v5
	v_cndmask_b32_e64 v5, 0, v107, s0
	v_cmp_gt_i32_e64 s0, s31, v4
	s_delay_alu instid0(VALU_DEP_4) | instskip(NEXT) | instid1(VALU_DEP_2)
	v_add_f32_e32 v7, v60, v7
	s_and_b32 s2, s0, vcc_lo
	s_and_b32 s0, s0, s1
	s_waitcnt vmcnt(5)
	v_cndmask_b32_e64 v9, 0, v108, s2
	s_waitcnt vmcnt(4)
	v_cndmask_b32_e64 v13, 0, v110, s0
	v_cndmask_b32_e64 v61, 0, v109, s2
	v_max_f32_e32 v7, 0, v7
	v_cvt_f32_f16_e32 v11, v9
	s_delay_alu instid0(VALU_DEP_2) | instskip(NEXT) | instid1(VALU_DEP_2)
	v_cvt_f16_f32_e32 v7, v7
	v_add_f32_e32 v11, v59, v11
	v_lshrrev_b32_e32 v59, 16, v13
	v_cvt_f32_f16_e32 v13, v13
	s_delay_alu instid0(VALU_DEP_1) | instskip(SKIP_1) | instid1(VALU_DEP_4)
	v_dual_add_f32 v13, v57, v13 :: v_dual_add_f32 v8, v62, v3
	v_max_f32_e32 v3, 0, v2
	v_cvt_f32_f16_e32 v57, v59
	s_delay_alu instid0(VALU_DEP_3) | instskip(SKIP_4) | instid1(VALU_DEP_4)
	v_dual_max_f32 v63, 0, v13 :: v_dual_max_f32 v2, 0, v8
	v_lshrrev_b32_e32 v8, 16, v9
	v_cndmask_b32_e64 v9, 0, v111, s0
	v_cmp_gt_i32_e64 s0, s31, v10
	v_cvt_f16_f32_e32 v3, v3
	v_cvt_f32_f16_e32 v8, v8
	s_delay_alu instid0(VALU_DEP_3)
	s_and_b32 s2, s0, vcc_lo
	s_and_b32 s0, s0, s1
	s_waitcnt vmcnt(3)
	v_cndmask_b32_e64 v62, 0, v112, s2
	v_add_f32_e32 v8, v58, v8
	v_max_f32_e32 v58, 0, v11
	v_cndmask_b32_e64 v60, 0, v113, s2
	s_lshl_b32 s2, s35, 6
	v_lshrrev_b32_e32 v11, 16, v62
	v_cvt_f32_f16_e32 v13, v62
	v_dual_max_f32 v59, 0, v8 :: v_dual_add_nc_u32 v62, 0x43, v83
	v_add_f32_e32 v8, v53, v57
	s_delay_alu instid0(VALU_DEP_4)
	v_cvt_f32_f16_e32 v11, v11
	s_waitcnt vmcnt(2)
	v_cndmask_b32_e64 v57, 0, v114, s0
	v_cndmask_b32_e64 v53, 0, v115, s0
	v_cmp_gt_i32_e64 s0, s31, v62
	v_add_f32_e32 v13, v52, v13
	v_dual_add_f32 v11, v51, v11 :: v_dual_max_f32 v6, 0, v6
	v_cvt_f32_f16_e32 v51, v57
	s_delay_alu instid0(VALU_DEP_4) | instskip(NEXT) | instid1(VALU_DEP_2)
	s_and_b32 vcc_lo, s0, vcc_lo
	v_dual_max_f32 v52, 0, v13 :: v_dual_max_f32 v91, 0, v11
	v_lshrrev_b32_e32 v11, 16, v57
	s_delay_alu instid0(VALU_DEP_3)
	v_add_f32_e32 v13, v48, v51
	s_waitcnt vmcnt(1)
	v_dual_cndmask_b32 v51, 0, v116 :: v_dual_cndmask_b32 v48, 0, v117
	s_and_b32 vcc_lo, s0, s1
	v_cvt_f32_f16_e32 v11, v11
	s_waitcnt vmcnt(0)
	v_dual_cndmask_b32 v57, 0, v119 :: v_dual_max_f32 v8, 0, v8
	v_cndmask_b32_e32 v92, 0, v118, vcc_lo
	v_cvt_f32_f16_e32 v93, v51
	v_add_f32_e32 v11, v47, v11
	v_lshrrev_b32_e32 v47, 16, v51
	v_max_f32_e32 v51, 0, v13
	v_cmp_gt_i32_e32 vcc_lo, s27, v82
	s_delay_alu instid0(VALU_DEP_4) | instskip(NEXT) | instid1(VALU_DEP_4)
	v_dual_add_f32 v46, v46, v93 :: v_dual_max_f32 v93, 0, v11
	v_cvt_f32_f16_e32 v11, v47
	v_cvt_f32_f16_e32 v47, v92
	v_cmp_gt_i32_e64 s1, s11, v83
	v_cvt_f16_f32_e32 v8, v8
	v_cvt_f16_f32_e32 v6, v6
	v_add_f32_e32 v54, v54, v11
	v_add_f32_e32 v47, v55, v47
	v_mul_lo_u32 v11, v83, s34
	s_and_b32 s0, s1, vcc_lo
	v_cvt_f16_f32_e32 v2, v2
	s_delay_alu instid0(VALU_DEP_3) | instskip(SKIP_3) | instid1(VALU_DEP_3)
	v_max_f32_e32 v47, 0, v47
	v_lshrrev_b32_e32 v13, 16, v92
	v_lshrrev_b32_e32 v92, 16, v12
	v_cvt_f32_f16_e32 v12, v12
	v_cvt_f32_f16_e32 v13, v13
	s_delay_alu instid0(VALU_DEP_3) | instskip(NEXT) | instid1(VALU_DEP_2)
	v_cvt_f32_f16_e32 v55, v92
	v_dual_add_f32 v50, v50, v12 :: v_dual_add_f32 v13, v56, v13
	s_delay_alu instid0(VALU_DEP_2) | instskip(SKIP_1) | instid1(VALU_DEP_3)
	v_dual_add_f32 v49, v49, v55 :: v_dual_max_f32 v46, 0, v46
	v_cvt_f32_f16_e32 v55, v77
	v_max_f32_e32 v56, 0, v13
	v_mad_u64_u32 v[12:13], null, v82, s35, v[11:12]
	v_cvt_f16_f32_e32 v11, v14
	v_dual_max_f32 v13, 0, v49 :: v_dual_max_f32 v14, 0, v50
	v_cvt_f16_f32_e32 v49, v78
	v_add_f32_e32 v41, v41, v55
	s_delay_alu instid0(VALU_DEP_3) | instskip(NEXT) | instid1(VALU_DEP_4)
	v_cvt_f16_f32_e32 v50, v13
	v_cvt_f16_f32_e32 v14, v14
	s_delay_alu instid0(VALU_DEP_4)
	v_pack_b32_f16 v13, v11, v49
	v_lshrrev_b32_e32 v11, 16, v80
	v_cndmask_b32_e64 v49, 0x80000000, 0, s0
	v_cmp_gt_i32_e64 s0, s27, v15
	v_pack_b32_f16 v14, v14, v50
	v_cvt_f32_f16_e32 v50, v80
	v_cvt_f32_f16_e32 v11, v11
	v_lshl_add_u32 v49, v12, 1, v49
	v_cvt_f16_f32_e32 v15, v84
	s_and_b32 s1, s1, s0
	s_delay_alu instid0(VALU_DEP_3)
	v_dual_add_f32 v11, v44, v11 :: v_dual_add_f32 v44, v45, v50
	buffer_store_b64 v[13:14], v49, s[4:7], 0 offen
	v_dual_max_f32 v54, 0, v54 :: v_dual_add_nc_u32 v45, s2, v12
	v_max_f32_e32 v11, 0, v11
	v_cvt_f32_f16_e32 v50, v76
	v_max_f32_e32 v14, 0, v44
	v_lshrrev_b32_e32 v44, 16, v76
	v_cvt_f16_f32_e32 v13, v79
	v_cvt_f16_f32_e32 v11, v11
	v_cndmask_b32_e64 v49, 0x80000000, 0, s1
	v_cvt_f16_f32_e32 v14, v14
	v_cvt_f32_f16_e32 v44, v44
	v_pack_b32_f16 v13, v13, v15
	v_cmp_gt_i32_e64 s1, s11, v81
	s_delay_alu instid0(VALU_DEP_4)
	v_pack_b32_f16 v14, v14, v11
	v_add_f32_e32 v11, v42, v50
	v_add_f32_e32 v15, v43, v44
	v_lshrrev_b32_e32 v42, 16, v77
	v_lshl_add_u32 v44, v45, 1, v49
	v_cvt_f16_f32_e32 v43, v86
	v_cvt_f16_f32_e32 v49, v87
	v_max_f32_e32 v15, 0, v15
	v_cvt_f32_f16_e32 v50, v42
	v_max_f32_e32 v11, 0, v11
	s_and_b32 s3, s1, s0
	v_pack_b32_f16 v42, v43, v49
	v_cvt_f16_f32_e32 v15, v15
	v_add_f32_e32 v40, v40, v50
	v_cvt_f16_f32_e32 v11, v11
	v_add_nc_u32_e32 v45, s34, v45
	v_cvt_f16_f32_e32 v49, v75
	v_lshrrev_b32_e32 v50, 16, v73
	s_and_b32 s1, s1, vcc_lo
	v_pack_b32_f16 v43, v11, v15
	v_dual_max_f32 v15, 0, v40 :: v_dual_max_f32 v40, 0, v41
	v_cndmask_b32_e64 v11, 0x80000000, 0, s3
	v_add_nc_u32_e32 v41, s34, v12
	v_cvt_f16_f32_e32 v12, v74
	s_delay_alu instid0(VALU_DEP_4)
	v_cvt_f16_f32_e32 v15, v15
	v_cvt_f16_f32_e32 v40, v40
	v_cndmask_b32_e64 v55, 0x80000000, 0, s1
	v_lshl_add_u32 v74, v45, 1, v11
	v_pack_b32_f16 v11, v12, v49
	buffer_store_b64 v[13:14], v44, s[4:7], 0 offen
	v_pack_b32_f16 v12, v40, v15
	v_cvt_f32_f16_e32 v15, v50
	v_cvt_f32_f16_e32 v13, v73
	buffer_store_b64 v[42:43], v74, s[4:7], 0 offen
	v_cmp_gt_i32_e64 s1, s11, v85
	v_lshrrev_b32_e32 v43, 16, v69
	v_add_f32_e32 v14, v39, v15
	v_lshl_add_u32 v40, v41, 1, v55
	v_cvt_f32_f16_e32 v39, v72
	v_add_nc_u32_e32 v15, s34, v41
	s_and_b32 s3, s1, vcc_lo
	s_and_b32 s1, s1, s0
	buffer_store_b64 v[11:12], v40, s[4:7], 0 offen
	v_add_f32_e32 v11, v38, v13
	v_max_f32_e32 v13, 0, v14
	v_lshrrev_b32_e32 v14, 16, v72
	v_cvt_f16_f32_e32 v12, v70
	v_cvt_f16_f32_e32 v38, v71
	v_max_f32_e32 v11, 0, v11
	v_cvt_f16_f32_e32 v13, v13
	v_cvt_f32_f16_e32 v14, v14
	v_cndmask_b32_e64 v41, 0x80000000, 0, s3
	s_delay_alu instid0(VALU_DEP_4) | instskip(SKIP_1) | instid1(VALU_DEP_4)
	v_cvt_f16_f32_e32 v40, v11
	v_pack_b32_f16 v11, v12, v38
	v_add_f32_e32 v14, v36, v14
	v_add_f32_e32 v36, v37, v39
	v_lshl_add_u32 v15, v15, 1, v41
	v_pack_b32_f16 v12, v40, v13
	v_cvt_f32_f16_e32 v40, v68
	s_delay_alu instid0(VALU_DEP_4) | instskip(SKIP_2) | instid1(VALU_DEP_4)
	v_dual_max_f32 v13, 0, v14 :: v_dual_max_f32 v14, 0, v36
	v_lshrrev_b32_e32 v36, 16, v68
	v_cvt_f16_f32_e32 v37, v89
	v_add_f32_e32 v35, v35, v40
	v_cvt_f16_f32_e32 v38, v90
	v_cvt_f16_f32_e32 v39, v13
	v_cvt_f32_f16_e32 v36, v36
	v_cvt_f16_f32_e32 v14, v14
	v_max_f32_e32 v35, 0, v35
	v_add_nc_u32_e32 v41, s34, v45
	v_pack_b32_f16 v13, v37, v38
	v_add_f32_e32 v34, v34, v36
	v_cndmask_b32_e64 v36, 0x80000000, 0, s1
	v_cmp_gt_i32_e64 s1, s11, v88
	v_cvt_f16_f32_e32 v35, v35
	v_pack_b32_f16 v14, v14, v39
	v_dual_max_f32 v34, 0, v34 :: v_dual_add_nc_u32 v37, s34, v41
	s_delay_alu instid0(VALU_DEP_4) | instskip(SKIP_2) | instid1(VALU_DEP_3)
	s_and_b32 s3, s1, s0
	v_cvt_f16_f32_e32 v38, v67
	v_cvt_f16_f32_e32 v39, v64
	;; [unrolled: 1-line block ×3, first 2 shown]
	v_cndmask_b32_e64 v42, 0x80000000, 0, s3
	v_lshl_add_u32 v36, v41, 1, v36
	s_and_b32 s1, s1, vcc_lo
	v_pack_b32_f16 v34, v38, v39
	v_pack_b32_f16 v35, v35, v40
	v_cvt_f32_f16_e32 v40, v69
	v_lshl_add_u32 v38, v37, 1, v42
	v_cvt_f32_f16_e32 v39, v43
	s_clause 0x2
	buffer_store_b64 v[11:12], v15, s[4:7], 0 offen
	buffer_store_b64 v[13:14], v36, s[4:7], 0 offen
	;; [unrolled: 1-line block ×3, first 2 shown]
	v_add_f32_e32 v12, v31, v40
	v_subrev_nc_u32_e32 v13, s2, v37
	v_cvt_f32_f16_e32 v31, v48
	v_lshrrev_b32_e32 v15, 16, v48
	v_cvt_f16_f32_e32 v14, v65
	s_delay_alu instid0(VALU_DEP_4) | instskip(NEXT) | instid1(VALU_DEP_4)
	v_dual_max_f32 v12, 0, v12 :: v_dual_lshlrev_b32 v35, 1, v13
	v_add_f32_e32 v31, v32, v31
	v_cndmask_b32_e64 v32, 0x80000000, 0, s1
	v_add_f32_e32 v11, v30, v39
	v_cvt_f32_f16_e32 v15, v15
	v_cvt_f16_f32_e32 v30, v66
	v_cvt_f16_f32_e32 v12, v12
	v_cmp_gt_i32_e64 s1, s11, v62
	v_max_f32_e32 v11, 0, v11
	v_add_f32_e32 v15, v33, v15
	v_cvt_f32_f16_e32 v33, v53
	s_delay_alu instid0(VALU_DEP_4) | instskip(NEXT) | instid1(VALU_DEP_3)
	s_and_b32 s3, s1, vcc_lo
	v_cvt_f16_f32_e32 v34, v11
	v_pack_b32_f16 v11, v14, v30
	v_max_f32_e32 v14, 0, v31
	v_dual_max_f32 v15, 0, v15 :: v_dual_add_nc_u32 v30, v35, v32
	s_delay_alu instid0(VALU_DEP_4) | instskip(SKIP_1) | instid1(VALU_DEP_4)
	v_pack_b32_f16 v12, v12, v34
	v_cvt_f16_f32_e32 v31, v46
	v_cvt_f16_f32_e32 v14, v14
	s_delay_alu instid0(VALU_DEP_4)
	v_cvt_f16_f32_e32 v15, v15
	v_cvt_f16_f32_e32 v32, v54
	buffer_store_b64 v[11:12], v30, s[4:7], 0 offen
	v_lshrrev_b32_e32 v30, 16, v57
	s_and_b32 s1, s1, s0
	v_pack_b32_f16 v12, v14, v15
	v_cvt_f32_f16_e32 v14, v57
	v_pack_b32_f16 v11, v31, v32
	v_cvt_f32_f16_e32 v15, v30
	v_cndmask_b32_e64 v30, 0x80000000, 0, s3
	s_lshl_b32 s3, s34, 7
	v_add_f32_e32 v14, v28, v14
	v_cvt_f16_f32_e32 v31, v56
	v_add_f32_e32 v15, v29, v15
	v_lshl_add_u32 v29, s8, 6, v13
	v_cndmask_b32_e64 v34, 0x80000000, 0, s1
	v_max_f32_e32 v13, 0, v14
	v_cmp_ge_i32_e64 s1, s11, v62
	v_max_f32_e32 v14, 0, v15
	v_lshrrev_b32_e32 v15, 16, v53
	v_add3_u32 v28, v30, s3, v35
	v_cvt_f16_f32_e32 v30, v47
	v_cvt_f16_f32_e32 v32, v13
	;; [unrolled: 1-line block ×3, first 2 shown]
	v_cvt_f32_f16_e32 v15, v15
	s_and_b32 s1, s1, s0
	v_pack_b32_f16 v13, v30, v31
	v_cvt_f16_f32_e32 v31, v93
	v_pack_b32_f16 v14, v32, v14
	v_dual_add_f32 v15, v26, v15 :: v_dual_add_f32 v26, v27, v33
	v_cvt_f16_f32_e32 v27, v51
	v_lshrrev_b32_e32 v33, 16, v60
	v_lshl_add_u32 v30, v29, 1, v34
	s_delay_alu instid0(VALU_DEP_4)
	v_dual_max_f32 v15, 0, v15 :: v_dual_max_f32 v26, 0, v26
	v_subrev_nc_u32_e32 v29, s34, v29
	v_cndmask_b32_e64 v34, 0x80000000, 0, s1
	s_clause 0x1
	buffer_store_b64 v[11:12], v28, s[4:7], 0 offen
	buffer_store_b64 v[13:14], v30, s[4:7], 0 offen
	v_cvt_f16_f32_e32 v15, v15
	v_cvt_f16_f32_e32 v32, v26
	v_pack_b32_f16 v26, v27, v31
	v_cvt_f32_f16_e32 v31, v60
	v_cvt_f16_f32_e32 v14, v52
	v_cmp_gt_i32_e64 s1, s11, v10
	v_pack_b32_f16 v27, v32, v15
	v_cvt_f32_f16_e32 v15, v33
	v_lshl_add_u32 v32, v29, 1, v34
	v_add_f32_e32 v12, v25, v31
	s_and_b32 s1, s1, vcc_lo
	v_subrev_nc_u32_e32 v13, s2, v29
	v_add_f32_e32 v11, v24, v15
	v_lshrrev_b32_e32 v24, 16, v61
	buffer_store_b64 v[26:27], v32, s[4:7], 0 offen
	v_max_f32_e32 v12, 0, v12
	v_cvt_f16_f32_e32 v15, v91
	v_max_f32_e32 v11, 0, v11
	v_cvt_f32_f16_e32 v26, v61
	v_cvt_f32_f16_e32 v24, v24
	v_cvt_f16_f32_e32 v12, v12
	v_cndmask_b32_e64 v27, 0x80000000, 0, s1
	v_cvt_f16_f32_e32 v25, v11
	v_pack_b32_f16 v11, v14, v15
	v_dual_add_f32 v14, v22, v24 :: v_dual_add_f32 v15, v23, v26
	v_cmp_ge_i32_e64 s1, s11, v10
	s_delay_alu instid0(VALU_DEP_4) | instskip(SKIP_1) | instid1(VALU_DEP_4)
	v_pack_b32_f16 v12, v12, v25
	v_lshrrev_b32_e32 v25, 16, v9
	v_dual_max_f32 v14, 0, v14 :: v_dual_max_f32 v15, 0, v15
	v_cvt_f16_f32_e32 v23, v58
	v_cvt_f16_f32_e32 v24, v59
	s_delay_alu instid0(VALU_DEP_4) | instskip(NEXT) | instid1(VALU_DEP_4)
	v_cvt_f32_f16_e32 v25, v25
	v_cvt_f16_f32_e32 v10, v14
	v_cvt_f16_f32_e32 v14, v15
	v_cvt_f32_f16_e32 v15, v9
	s_and_b32 s1, s1, vcc_lo
	v_lshl_add_u32 v22, v13, 1, v27
	v_cndmask_b32_e64 v26, 0x80000000, 0, s1
	v_pack_b32_f16 v10, v14, v10
	v_dual_add_f32 v14, v20, v25 :: v_dual_add_f32 v15, v21, v15
	v_cmp_gt_i32_e64 s1, s11, v4
	v_subrev_nc_u32_e32 v13, s34, v13
	v_pack_b32_f16 v9, v23, v24
	s_delay_alu instid0(VALU_DEP_4)
	v_dual_max_f32 v14, 0, v14 :: v_dual_max_f32 v15, 0, v15
	v_lshrrev_b32_e32 v23, 16, v5
	v_cvt_f32_f16_e32 v5, v5
	s_and_b32 s1, s1, s0
	v_lshl_add_u32 v20, v13, 1, v26
	v_cvt_f16_f32_e32 v14, v14
	v_cvt_f16_f32_e32 v15, v15
	v_cvt_f32_f16_e32 v23, v23
	v_add_nc_u32_e32 v21, s2, v13
	v_cvt_f16_f32_e32 v13, v63
	v_cndmask_b32_e64 v24, 0x80000000, 0, s1
	v_add_f32_e32 v5, v18, v5
	v_lshrrev_b32_e32 v18, 16, v1
	v_pack_b32_f16 v14, v15, v14
	v_pack_b32_f16 v13, v13, v8
	v_add_f32_e32 v8, v19, v23
	v_lshl_add_u32 v15, v21, 1, v24
	v_subrev_nc_u32_e32 v19, s34, v21
	v_max_f32_e32 v21, 0, v5
	v_pack_b32_f16 v5, v6, v7
	v_cvt_f32_f16_e32 v7, v18
	v_cvt_f32_f16_e32 v1, v1
	v_cmp_ge_i32_e64 s1, s11, v4
	v_cmp_gt_i32_e64 s2, s11, v0
	s_delay_alu instid0(VALU_DEP_4) | instskip(NEXT) | instid1(VALU_DEP_4)
	v_dual_max_f32 v8, 0, v8 :: v_dual_add_f32 v7, v16, v7
	v_add_f32_e32 v1, v17, v1
	s_delay_alu instid0(VALU_DEP_4)
	s_and_b32 s0, s1, s0
	v_lshlrev_b32_e32 v4, 1, v19
	v_cndmask_b32_e64 v0, 0x80000000, 0, s0
	s_and_b32 s0, s2, vcc_lo
	v_max_f32_e32 v7, 0, v7
	v_max_f32_e32 v1, 0, v1
	v_cndmask_b32_e64 v16, 0x80000000, 0, s0
	s_lshl_b32 s0, s35, 7
	v_cvt_f16_f32_e32 v6, v8
	v_cvt_f16_f32_e32 v8, v21
	;; [unrolled: 1-line block ×4, first 2 shown]
	v_subrev_nc_u32_e32 v16, s0, v16
	s_delay_alu instid0(VALU_DEP_4)
	v_pack_b32_f16 v6, v8, v6
	v_add_nc_u32_e32 v8, v4, v0
	v_pack_b32_f16 v0, v3, v2
	v_pack_b32_f16 v1, v1, v7
	v_add_nc_u32_e32 v2, v16, v4
	s_clause 0x4
	buffer_store_b64 v[11:12], v22, s[4:7], 0 offen
	buffer_store_b64 v[9:10], v20, s[4:7], 0 offen
	;; [unrolled: 1-line block ×5, first 2 shown]
	s_nop 0
	s_sendmsg sendmsg(MSG_DEALLOC_VGPRS)
	s_endpgm
	.section	.rodata,"a",@progbits
	.p2align	6, 0x0
	.amdhsa_kernel _ZN2ck16tensor_operation6device12_GLOBAL__N_137kernel_grouped_conv_fwd_dl_multiple_dINS_32GridwiseGemmDlMultipleD_km_kn_mnILi256EDF16_fNS_5TupleIJDF16_EEEDF16_NS0_12element_wise11PassThroughES8_NS7_7AddReluELNS_25InMemoryDataOperationEnumE0ENS_16TensorDescriptorINS5_IJNS_5EmbedINS5_IJiiiiiEEESD_Lb0EEENS_11PassThroughIiEENS_3PadIiiiLb0EEESI_SI_SG_SG_NSC_INS5_IJiiEEESJ_Lb0EEESK_SK_SG_NS_23Merge_v2_magic_divisionINS5_IJiiiiEEEEESN_NS_8RightPadIiiLb0EEESP_NS_7UnMergeISJ_Lb0EEESG_EEENS5_IJNS_8SequenceIJLi0EEEENST_IJLi1EEEENST_IJLi2EEEENST_IJLi3EEEENST_IJLi4EEEENST_IJLi5EEEENST_IJLi6EEEENST_IJLi7EEEENST_IJLi8EEEENST_IJLi9EEEENST_IJLi10EEEENST_IJLi11ELi13ELi15ELi17EEEENST_IJLi12ELi14ELi16ELi18EEEENST_IJLi19EEEENST_IJLi20EEEENST_IJLi22EEEENST_IJLi21EEEEEEENS5_IJNST_IJLi1ELi2ELi3ELi4ELi5EEEES10_S11_S12_S13_S14_NST_IJLi11EEEENST_IJLi12ELi13EEEENST_IJLi14ELi15EEEENST_IJLi16ELi17EEEENST_IJLi18EEEES17_S18_S1A_S19_NST_IJLi23ELi24EEEENST_IJLi25EEEEEEENST_IJLi23ELi25ELi24EEEElEENSB_INS5_IJSR_SP_SP_SR_SG_EEENS5_IJSU_SV_SW_SY_SX_EEENS5_IJNST_IJLi1ELi2EEEESX_SY_NST_IJLi5ELi6EEEES11_EEENST_IJLi5ELi7ELi6EEEElEENSB_INS5_IJSK_SP_SP_EEENS5_IJSU_SV_SW_EEENS5_IJS1P_SX_SY_EEENST_IJLi3ELi4EEEElEELi128ELi128ELi16ELi2ELi4ELi4ELi1ENST_IJLi8ELi2EEEES1Z_NST_IJLi8ELi1ELi1ELi2EEEENST_IJLi2ELi1ELi128ELi1EEEENST_IJLi1ELi2ELi0ELi3EEEES22_NST_IJLi4ELi1ELi1ELi2EEEES22_NST_IJLi1ELi1ELi1ELi2EEEES20_S21_S22_S22_S23_S22_S24_NST_IJLi0ELi1ELi2ELi3ELi4ELi5EEEELi5ELi4EEEDF16_NS5_IJPKDF16_EEEDF16_S8_S8_S9_NSB_INS5_IJSE_SG_SI_SI_SI_SG_SG_SK_SK_SK_SG_SN_SN_SP_SP_SR_SG_SG_NSQ_INS5_IJiNS_17integral_constantIiLi128EEEEEELb0EEENSF_INS2A_IiLi2EEEEEEEENS5_IJSU_SV_SW_SX_SY_SZ_S10_S11_S12_S13_S14_S15_S16_S17_S18_S19_S1A_NST_IJLi23EEEES1J_NST_IJLi24EEEEEEENS5_IJS1C_S10_S11_S12_S13_S14_S1D_S1E_S1F_S1G_S1H_S17_S18_S1A_S19_S1I_S1J_NST_IJLi26EEEENST_IJLi27ELi28EEEENST_IJLi29EEEEEEENST_IJLi26ELi27ELi28ELi29EEEElEENSB_INS5_IJSR_SP_SP_SR_SG_SG_S2D_S2F_EEENS5_IJSU_SV_SW_SY_SX_SZ_S11_S10_EEENS5_IJS1P_SX_SY_S1Q_S11_S12_NST_IJLi9ELi10EEEES1D_EEENST_IJLi8ELi9ELi10ELi11EEEElEENS5_IJNSB_INS5_IJSK_SP_SP_NSQ_INS5_IJiS2E_NS2A_IiLi64EEEEEELb0EEES2Y_EEENS5_IJSU_SV_SW_SX_SY_EEENS5_IJS1P_SX_SY_NST_IJLi5ELi6ELi7EEEENST_IJLi8ELi9ELi10EEEEEEENST_IJLi5ELi6ELi7ELi8ELi9ELi10EEEElEEEEES35_NS_31BlockToCTileMap_M00_N00_M01_N01ILi128ELi128ES1Y_Lb0EEENS1_30ComputePtrOffsetOfStridedBatchILi1ELi1ELi1EvEELb1ELb0EEEvPKT0_S3D_T1_PT2_T3_T4_T5_iT6_T7_T8_T9_T10_T11_
		.amdhsa_group_segment_fixed_size 32768
		.amdhsa_private_segment_fixed_size 0
		.amdhsa_kernarg_size 1024
		.amdhsa_user_sgpr_count 15
		.amdhsa_user_sgpr_dispatch_ptr 0
		.amdhsa_user_sgpr_queue_ptr 0
		.amdhsa_user_sgpr_kernarg_segment_ptr 1
		.amdhsa_user_sgpr_dispatch_id 0
		.amdhsa_user_sgpr_private_segment_size 0
		.amdhsa_wavefront_size32 1
		.amdhsa_uses_dynamic_stack 0
		.amdhsa_enable_private_segment 0
		.amdhsa_system_sgpr_workgroup_id_x 1
		.amdhsa_system_sgpr_workgroup_id_y 0
		.amdhsa_system_sgpr_workgroup_id_z 0
		.amdhsa_system_sgpr_workgroup_info 0
		.amdhsa_system_vgpr_workitem_id 0
		.amdhsa_next_free_vgpr 132
		.amdhsa_next_free_sgpr 76
		.amdhsa_reserve_vcc 1
		.amdhsa_float_round_mode_32 0
		.amdhsa_float_round_mode_16_64 0
		.amdhsa_float_denorm_mode_32 3
		.amdhsa_float_denorm_mode_16_64 3
		.amdhsa_dx10_clamp 1
		.amdhsa_ieee_mode 1
		.amdhsa_fp16_overflow 0
		.amdhsa_workgroup_processor_mode 1
		.amdhsa_memory_ordered 1
		.amdhsa_forward_progress 0
		.amdhsa_shared_vgpr_count 0
		.amdhsa_exception_fp_ieee_invalid_op 0
		.amdhsa_exception_fp_denorm_src 0
		.amdhsa_exception_fp_ieee_div_zero 0
		.amdhsa_exception_fp_ieee_overflow 0
		.amdhsa_exception_fp_ieee_underflow 0
		.amdhsa_exception_fp_ieee_inexact 0
		.amdhsa_exception_int_div_zero 0
	.end_amdhsa_kernel
	.section	.text._ZN2ck16tensor_operation6device12_GLOBAL__N_137kernel_grouped_conv_fwd_dl_multiple_dINS_32GridwiseGemmDlMultipleD_km_kn_mnILi256EDF16_fNS_5TupleIJDF16_EEEDF16_NS0_12element_wise11PassThroughES8_NS7_7AddReluELNS_25InMemoryDataOperationEnumE0ENS_16TensorDescriptorINS5_IJNS_5EmbedINS5_IJiiiiiEEESD_Lb0EEENS_11PassThroughIiEENS_3PadIiiiLb0EEESI_SI_SG_SG_NSC_INS5_IJiiEEESJ_Lb0EEESK_SK_SG_NS_23Merge_v2_magic_divisionINS5_IJiiiiEEEEESN_NS_8RightPadIiiLb0EEESP_NS_7UnMergeISJ_Lb0EEESG_EEENS5_IJNS_8SequenceIJLi0EEEENST_IJLi1EEEENST_IJLi2EEEENST_IJLi3EEEENST_IJLi4EEEENST_IJLi5EEEENST_IJLi6EEEENST_IJLi7EEEENST_IJLi8EEEENST_IJLi9EEEENST_IJLi10EEEENST_IJLi11ELi13ELi15ELi17EEEENST_IJLi12ELi14ELi16ELi18EEEENST_IJLi19EEEENST_IJLi20EEEENST_IJLi22EEEENST_IJLi21EEEEEEENS5_IJNST_IJLi1ELi2ELi3ELi4ELi5EEEES10_S11_S12_S13_S14_NST_IJLi11EEEENST_IJLi12ELi13EEEENST_IJLi14ELi15EEEENST_IJLi16ELi17EEEENST_IJLi18EEEES17_S18_S1A_S19_NST_IJLi23ELi24EEEENST_IJLi25EEEEEEENST_IJLi23ELi25ELi24EEEElEENSB_INS5_IJSR_SP_SP_SR_SG_EEENS5_IJSU_SV_SW_SY_SX_EEENS5_IJNST_IJLi1ELi2EEEESX_SY_NST_IJLi5ELi6EEEES11_EEENST_IJLi5ELi7ELi6EEEElEENSB_INS5_IJSK_SP_SP_EEENS5_IJSU_SV_SW_EEENS5_IJS1P_SX_SY_EEENST_IJLi3ELi4EEEElEELi128ELi128ELi16ELi2ELi4ELi4ELi1ENST_IJLi8ELi2EEEES1Z_NST_IJLi8ELi1ELi1ELi2EEEENST_IJLi2ELi1ELi128ELi1EEEENST_IJLi1ELi2ELi0ELi3EEEES22_NST_IJLi4ELi1ELi1ELi2EEEES22_NST_IJLi1ELi1ELi1ELi2EEEES20_S21_S22_S22_S23_S22_S24_NST_IJLi0ELi1ELi2ELi3ELi4ELi5EEEELi5ELi4EEEDF16_NS5_IJPKDF16_EEEDF16_S8_S8_S9_NSB_INS5_IJSE_SG_SI_SI_SI_SG_SG_SK_SK_SK_SG_SN_SN_SP_SP_SR_SG_SG_NSQ_INS5_IJiNS_17integral_constantIiLi128EEEEEELb0EEENSF_INS2A_IiLi2EEEEEEEENS5_IJSU_SV_SW_SX_SY_SZ_S10_S11_S12_S13_S14_S15_S16_S17_S18_S19_S1A_NST_IJLi23EEEES1J_NST_IJLi24EEEEEEENS5_IJS1C_S10_S11_S12_S13_S14_S1D_S1E_S1F_S1G_S1H_S17_S18_S1A_S19_S1I_S1J_NST_IJLi26EEEENST_IJLi27ELi28EEEENST_IJLi29EEEEEEENST_IJLi26ELi27ELi28ELi29EEEElEENSB_INS5_IJSR_SP_SP_SR_SG_SG_S2D_S2F_EEENS5_IJSU_SV_SW_SY_SX_SZ_S11_S10_EEENS5_IJS1P_SX_SY_S1Q_S11_S12_NST_IJLi9ELi10EEEES1D_EEENST_IJLi8ELi9ELi10ELi11EEEElEENS5_IJNSB_INS5_IJSK_SP_SP_NSQ_INS5_IJiS2E_NS2A_IiLi64EEEEEELb0EEES2Y_EEENS5_IJSU_SV_SW_SX_SY_EEENS5_IJS1P_SX_SY_NST_IJLi5ELi6ELi7EEEENST_IJLi8ELi9ELi10EEEEEEENST_IJLi5ELi6ELi7ELi8ELi9ELi10EEEElEEEEES35_NS_31BlockToCTileMap_M00_N00_M01_N01ILi128ELi128ES1Y_Lb0EEENS1_30ComputePtrOffsetOfStridedBatchILi1ELi1ELi1EvEELb1ELb0EEEvPKT0_S3D_T1_PT2_T3_T4_T5_iT6_T7_T8_T9_T10_T11_,"axG",@progbits,_ZN2ck16tensor_operation6device12_GLOBAL__N_137kernel_grouped_conv_fwd_dl_multiple_dINS_32GridwiseGemmDlMultipleD_km_kn_mnILi256EDF16_fNS_5TupleIJDF16_EEEDF16_NS0_12element_wise11PassThroughES8_NS7_7AddReluELNS_25InMemoryDataOperationEnumE0ENS_16TensorDescriptorINS5_IJNS_5EmbedINS5_IJiiiiiEEESD_Lb0EEENS_11PassThroughIiEENS_3PadIiiiLb0EEESI_SI_SG_SG_NSC_INS5_IJiiEEESJ_Lb0EEESK_SK_SG_NS_23Merge_v2_magic_divisionINS5_IJiiiiEEEEESN_NS_8RightPadIiiLb0EEESP_NS_7UnMergeISJ_Lb0EEESG_EEENS5_IJNS_8SequenceIJLi0EEEENST_IJLi1EEEENST_IJLi2EEEENST_IJLi3EEEENST_IJLi4EEEENST_IJLi5EEEENST_IJLi6EEEENST_IJLi7EEEENST_IJLi8EEEENST_IJLi9EEEENST_IJLi10EEEENST_IJLi11ELi13ELi15ELi17EEEENST_IJLi12ELi14ELi16ELi18EEEENST_IJLi19EEEENST_IJLi20EEEENST_IJLi22EEEENST_IJLi21EEEEEEENS5_IJNST_IJLi1ELi2ELi3ELi4ELi5EEEES10_S11_S12_S13_S14_NST_IJLi11EEEENST_IJLi12ELi13EEEENST_IJLi14ELi15EEEENST_IJLi16ELi17EEEENST_IJLi18EEEES17_S18_S1A_S19_NST_IJLi23ELi24EEEENST_IJLi25EEEEEEENST_IJLi23ELi25ELi24EEEElEENSB_INS5_IJSR_SP_SP_SR_SG_EEENS5_IJSU_SV_SW_SY_SX_EEENS5_IJNST_IJLi1ELi2EEEESX_SY_NST_IJLi5ELi6EEEES11_EEENST_IJLi5ELi7ELi6EEEElEENSB_INS5_IJSK_SP_SP_EEENS5_IJSU_SV_SW_EEENS5_IJS1P_SX_SY_EEENST_IJLi3ELi4EEEElEELi128ELi128ELi16ELi2ELi4ELi4ELi1ENST_IJLi8ELi2EEEES1Z_NST_IJLi8ELi1ELi1ELi2EEEENST_IJLi2ELi1ELi128ELi1EEEENST_IJLi1ELi2ELi0ELi3EEEES22_NST_IJLi4ELi1ELi1ELi2EEEES22_NST_IJLi1ELi1ELi1ELi2EEEES20_S21_S22_S22_S23_S22_S24_NST_IJLi0ELi1ELi2ELi3ELi4ELi5EEEELi5ELi4EEEDF16_NS5_IJPKDF16_EEEDF16_S8_S8_S9_NSB_INS5_IJSE_SG_SI_SI_SI_SG_SG_SK_SK_SK_SG_SN_SN_SP_SP_SR_SG_SG_NSQ_INS5_IJiNS_17integral_constantIiLi128EEEEEELb0EEENSF_INS2A_IiLi2EEEEEEEENS5_IJSU_SV_SW_SX_SY_SZ_S10_S11_S12_S13_S14_S15_S16_S17_S18_S19_S1A_NST_IJLi23EEEES1J_NST_IJLi24EEEEEEENS5_IJS1C_S10_S11_S12_S13_S14_S1D_S1E_S1F_S1G_S1H_S17_S18_S1A_S19_S1I_S1J_NST_IJLi26EEEENST_IJLi27ELi28EEEENST_IJLi29EEEEEEENST_IJLi26ELi27ELi28ELi29EEEElEENSB_INS5_IJSR_SP_SP_SR_SG_SG_S2D_S2F_EEENS5_IJSU_SV_SW_SY_SX_SZ_S11_S10_EEENS5_IJS1P_SX_SY_S1Q_S11_S12_NST_IJLi9ELi10EEEES1D_EEENST_IJLi8ELi9ELi10ELi11EEEElEENS5_IJNSB_INS5_IJSK_SP_SP_NSQ_INS5_IJiS2E_NS2A_IiLi64EEEEEELb0EEES2Y_EEENS5_IJSU_SV_SW_SX_SY_EEENS5_IJS1P_SX_SY_NST_IJLi5ELi6ELi7EEEENST_IJLi8ELi9ELi10EEEEEEENST_IJLi5ELi6ELi7ELi8ELi9ELi10EEEElEEEEES35_NS_31BlockToCTileMap_M00_N00_M01_N01ILi128ELi128ES1Y_Lb0EEENS1_30ComputePtrOffsetOfStridedBatchILi1ELi1ELi1EvEELb1ELb0EEEvPKT0_S3D_T1_PT2_T3_T4_T5_iT6_T7_T8_T9_T10_T11_,comdat
.Lfunc_end10:
	.size	_ZN2ck16tensor_operation6device12_GLOBAL__N_137kernel_grouped_conv_fwd_dl_multiple_dINS_32GridwiseGemmDlMultipleD_km_kn_mnILi256EDF16_fNS_5TupleIJDF16_EEEDF16_NS0_12element_wise11PassThroughES8_NS7_7AddReluELNS_25InMemoryDataOperationEnumE0ENS_16TensorDescriptorINS5_IJNS_5EmbedINS5_IJiiiiiEEESD_Lb0EEENS_11PassThroughIiEENS_3PadIiiiLb0EEESI_SI_SG_SG_NSC_INS5_IJiiEEESJ_Lb0EEESK_SK_SG_NS_23Merge_v2_magic_divisionINS5_IJiiiiEEEEESN_NS_8RightPadIiiLb0EEESP_NS_7UnMergeISJ_Lb0EEESG_EEENS5_IJNS_8SequenceIJLi0EEEENST_IJLi1EEEENST_IJLi2EEEENST_IJLi3EEEENST_IJLi4EEEENST_IJLi5EEEENST_IJLi6EEEENST_IJLi7EEEENST_IJLi8EEEENST_IJLi9EEEENST_IJLi10EEEENST_IJLi11ELi13ELi15ELi17EEEENST_IJLi12ELi14ELi16ELi18EEEENST_IJLi19EEEENST_IJLi20EEEENST_IJLi22EEEENST_IJLi21EEEEEEENS5_IJNST_IJLi1ELi2ELi3ELi4ELi5EEEES10_S11_S12_S13_S14_NST_IJLi11EEEENST_IJLi12ELi13EEEENST_IJLi14ELi15EEEENST_IJLi16ELi17EEEENST_IJLi18EEEES17_S18_S1A_S19_NST_IJLi23ELi24EEEENST_IJLi25EEEEEEENST_IJLi23ELi25ELi24EEEElEENSB_INS5_IJSR_SP_SP_SR_SG_EEENS5_IJSU_SV_SW_SY_SX_EEENS5_IJNST_IJLi1ELi2EEEESX_SY_NST_IJLi5ELi6EEEES11_EEENST_IJLi5ELi7ELi6EEEElEENSB_INS5_IJSK_SP_SP_EEENS5_IJSU_SV_SW_EEENS5_IJS1P_SX_SY_EEENST_IJLi3ELi4EEEElEELi128ELi128ELi16ELi2ELi4ELi4ELi1ENST_IJLi8ELi2EEEES1Z_NST_IJLi8ELi1ELi1ELi2EEEENST_IJLi2ELi1ELi128ELi1EEEENST_IJLi1ELi2ELi0ELi3EEEES22_NST_IJLi4ELi1ELi1ELi2EEEES22_NST_IJLi1ELi1ELi1ELi2EEEES20_S21_S22_S22_S23_S22_S24_NST_IJLi0ELi1ELi2ELi3ELi4ELi5EEEELi5ELi4EEEDF16_NS5_IJPKDF16_EEEDF16_S8_S8_S9_NSB_INS5_IJSE_SG_SI_SI_SI_SG_SG_SK_SK_SK_SG_SN_SN_SP_SP_SR_SG_SG_NSQ_INS5_IJiNS_17integral_constantIiLi128EEEEEELb0EEENSF_INS2A_IiLi2EEEEEEEENS5_IJSU_SV_SW_SX_SY_SZ_S10_S11_S12_S13_S14_S15_S16_S17_S18_S19_S1A_NST_IJLi23EEEES1J_NST_IJLi24EEEEEEENS5_IJS1C_S10_S11_S12_S13_S14_S1D_S1E_S1F_S1G_S1H_S17_S18_S1A_S19_S1I_S1J_NST_IJLi26EEEENST_IJLi27ELi28EEEENST_IJLi29EEEEEEENST_IJLi26ELi27ELi28ELi29EEEElEENSB_INS5_IJSR_SP_SP_SR_SG_SG_S2D_S2F_EEENS5_IJSU_SV_SW_SY_SX_SZ_S11_S10_EEENS5_IJS1P_SX_SY_S1Q_S11_S12_NST_IJLi9ELi10EEEES1D_EEENST_IJLi8ELi9ELi10ELi11EEEElEENS5_IJNSB_INS5_IJSK_SP_SP_NSQ_INS5_IJiS2E_NS2A_IiLi64EEEEEELb0EEES2Y_EEENS5_IJSU_SV_SW_SX_SY_EEENS5_IJS1P_SX_SY_NST_IJLi5ELi6ELi7EEEENST_IJLi8ELi9ELi10EEEEEEENST_IJLi5ELi6ELi7ELi8ELi9ELi10EEEElEEEEES35_NS_31BlockToCTileMap_M00_N00_M01_N01ILi128ELi128ES1Y_Lb0EEENS1_30ComputePtrOffsetOfStridedBatchILi1ELi1ELi1EvEELb1ELb0EEEvPKT0_S3D_T1_PT2_T3_T4_T5_iT6_T7_T8_T9_T10_T11_, .Lfunc_end10-_ZN2ck16tensor_operation6device12_GLOBAL__N_137kernel_grouped_conv_fwd_dl_multiple_dINS_32GridwiseGemmDlMultipleD_km_kn_mnILi256EDF16_fNS_5TupleIJDF16_EEEDF16_NS0_12element_wise11PassThroughES8_NS7_7AddReluELNS_25InMemoryDataOperationEnumE0ENS_16TensorDescriptorINS5_IJNS_5EmbedINS5_IJiiiiiEEESD_Lb0EEENS_11PassThroughIiEENS_3PadIiiiLb0EEESI_SI_SG_SG_NSC_INS5_IJiiEEESJ_Lb0EEESK_SK_SG_NS_23Merge_v2_magic_divisionINS5_IJiiiiEEEEESN_NS_8RightPadIiiLb0EEESP_NS_7UnMergeISJ_Lb0EEESG_EEENS5_IJNS_8SequenceIJLi0EEEENST_IJLi1EEEENST_IJLi2EEEENST_IJLi3EEEENST_IJLi4EEEENST_IJLi5EEEENST_IJLi6EEEENST_IJLi7EEEENST_IJLi8EEEENST_IJLi9EEEENST_IJLi10EEEENST_IJLi11ELi13ELi15ELi17EEEENST_IJLi12ELi14ELi16ELi18EEEENST_IJLi19EEEENST_IJLi20EEEENST_IJLi22EEEENST_IJLi21EEEEEEENS5_IJNST_IJLi1ELi2ELi3ELi4ELi5EEEES10_S11_S12_S13_S14_NST_IJLi11EEEENST_IJLi12ELi13EEEENST_IJLi14ELi15EEEENST_IJLi16ELi17EEEENST_IJLi18EEEES17_S18_S1A_S19_NST_IJLi23ELi24EEEENST_IJLi25EEEEEEENST_IJLi23ELi25ELi24EEEElEENSB_INS5_IJSR_SP_SP_SR_SG_EEENS5_IJSU_SV_SW_SY_SX_EEENS5_IJNST_IJLi1ELi2EEEESX_SY_NST_IJLi5ELi6EEEES11_EEENST_IJLi5ELi7ELi6EEEElEENSB_INS5_IJSK_SP_SP_EEENS5_IJSU_SV_SW_EEENS5_IJS1P_SX_SY_EEENST_IJLi3ELi4EEEElEELi128ELi128ELi16ELi2ELi4ELi4ELi1ENST_IJLi8ELi2EEEES1Z_NST_IJLi8ELi1ELi1ELi2EEEENST_IJLi2ELi1ELi128ELi1EEEENST_IJLi1ELi2ELi0ELi3EEEES22_NST_IJLi4ELi1ELi1ELi2EEEES22_NST_IJLi1ELi1ELi1ELi2EEEES20_S21_S22_S22_S23_S22_S24_NST_IJLi0ELi1ELi2ELi3ELi4ELi5EEEELi5ELi4EEEDF16_NS5_IJPKDF16_EEEDF16_S8_S8_S9_NSB_INS5_IJSE_SG_SI_SI_SI_SG_SG_SK_SK_SK_SG_SN_SN_SP_SP_SR_SG_SG_NSQ_INS5_IJiNS_17integral_constantIiLi128EEEEEELb0EEENSF_INS2A_IiLi2EEEEEEEENS5_IJSU_SV_SW_SX_SY_SZ_S10_S11_S12_S13_S14_S15_S16_S17_S18_S19_S1A_NST_IJLi23EEEES1J_NST_IJLi24EEEEEEENS5_IJS1C_S10_S11_S12_S13_S14_S1D_S1E_S1F_S1G_S1H_S17_S18_S1A_S19_S1I_S1J_NST_IJLi26EEEENST_IJLi27ELi28EEEENST_IJLi29EEEEEEENST_IJLi26ELi27ELi28ELi29EEEElEENSB_INS5_IJSR_SP_SP_SR_SG_SG_S2D_S2F_EEENS5_IJSU_SV_SW_SY_SX_SZ_S11_S10_EEENS5_IJS1P_SX_SY_S1Q_S11_S12_NST_IJLi9ELi10EEEES1D_EEENST_IJLi8ELi9ELi10ELi11EEEElEENS5_IJNSB_INS5_IJSK_SP_SP_NSQ_INS5_IJiS2E_NS2A_IiLi64EEEEEELb0EEES2Y_EEENS5_IJSU_SV_SW_SX_SY_EEENS5_IJS1P_SX_SY_NST_IJLi5ELi6ELi7EEEENST_IJLi8ELi9ELi10EEEEEEENST_IJLi5ELi6ELi7ELi8ELi9ELi10EEEElEEEEES35_NS_31BlockToCTileMap_M00_N00_M01_N01ILi128ELi128ES1Y_Lb0EEENS1_30ComputePtrOffsetOfStridedBatchILi1ELi1ELi1EvEELb1ELb0EEEvPKT0_S3D_T1_PT2_T3_T4_T5_iT6_T7_T8_T9_T10_T11_
                                        ; -- End function
	.section	.AMDGPU.csdata,"",@progbits
; Kernel info:
; codeLenInByte = 21960
; NumSgprs: 78
; NumVgprs: 132
; ScratchSize: 0
; MemoryBound: 0
; FloatMode: 240
; IeeeMode: 1
; LDSByteSize: 32768 bytes/workgroup (compile time only)
; SGPRBlocks: 9
; VGPRBlocks: 16
; NumSGPRsForWavesPerEU: 78
; NumVGPRsForWavesPerEU: 132
; Occupancy: 8
; WaveLimiterHint : 0
; COMPUTE_PGM_RSRC2:SCRATCH_EN: 0
; COMPUTE_PGM_RSRC2:USER_SGPR: 15
; COMPUTE_PGM_RSRC2:TRAP_HANDLER: 0
; COMPUTE_PGM_RSRC2:TGID_X_EN: 1
; COMPUTE_PGM_RSRC2:TGID_Y_EN: 0
; COMPUTE_PGM_RSRC2:TGID_Z_EN: 0
; COMPUTE_PGM_RSRC2:TIDIG_COMP_CNT: 0
	.section	.text._ZN2ck16tensor_operation6device12_GLOBAL__N_137kernel_grouped_conv_fwd_dl_multiple_dINS_32GridwiseGemmDlMultipleD_km_kn_mnILi256EDF16_fNS_5TupleIJDF16_EEEDF16_NS0_12element_wise11PassThroughES8_NS7_7AddReluELNS_25InMemoryDataOperationEnumE0ENS_16TensorDescriptorINS5_IJNS_5EmbedINS5_IJiiiiiEEESD_Lb0EEENS_11PassThroughIiEENS_3PadIiiiLb0EEESI_SI_SG_SG_NSC_INS5_IJiiEEESJ_Lb0EEESK_SK_SG_NS_23Merge_v2_magic_divisionINS5_IJiiiiEEEEESN_NS_8RightPadIiiLb0EEESP_NS_7UnMergeISJ_Lb0EEESG_EEENS5_IJNS_8SequenceIJLi0EEEENST_IJLi1EEEENST_IJLi2EEEENST_IJLi3EEEENST_IJLi4EEEENST_IJLi5EEEENST_IJLi6EEEENST_IJLi7EEEENST_IJLi8EEEENST_IJLi9EEEENST_IJLi10EEEENST_IJLi11ELi13ELi15ELi17EEEENST_IJLi12ELi14ELi16ELi18EEEENST_IJLi19EEEENST_IJLi20EEEENST_IJLi22EEEENST_IJLi21EEEEEEENS5_IJNST_IJLi1ELi2ELi3ELi4ELi5EEEES10_S11_S12_S13_S14_NST_IJLi11EEEENST_IJLi12ELi13EEEENST_IJLi14ELi15EEEENST_IJLi16ELi17EEEENST_IJLi18EEEES17_S18_S1A_S19_NST_IJLi23ELi24EEEENST_IJLi25EEEEEEENST_IJLi23ELi25ELi24EEEElEENSB_INS5_IJSR_SP_SP_SR_SG_EEENS5_IJSU_SV_SW_SY_SX_EEENS5_IJNST_IJLi1ELi2EEEESX_SY_NST_IJLi5ELi6EEEES11_EEENST_IJLi5ELi7ELi6EEEElEENSB_INS5_IJSK_SP_SP_EEENS5_IJSU_SV_SW_EEENS5_IJS1P_SX_SY_EEENST_IJLi3ELi4EEEElEELi128ELi128ELi16ELi2ELi4ELi4ELi1ENST_IJLi8ELi2EEEES1Z_NST_IJLi8ELi1ELi1ELi2EEEENST_IJLi2ELi1ELi128ELi1EEEENST_IJLi1ELi2ELi0ELi3EEEES22_NST_IJLi4ELi1ELi1ELi2EEEES22_NST_IJLi1ELi1ELi1ELi2EEEES20_S21_S22_S22_S23_S22_S24_NST_IJLi0ELi1ELi2ELi3ELi4ELi5EEEELi5ELi4EEEDF16_NS5_IJPKDF16_EEEDF16_S8_S8_S9_NSB_INS5_IJSE_SG_SI_SI_SI_SG_SG_SK_SK_SK_SG_SN_SN_SP_SP_SR_SG_SG_NSQ_INS5_IJiNS_17integral_constantIiLi128EEEEEELb0EEENSF_INS2A_IiLi2EEEEEEEENS5_IJSU_SV_SW_SX_SY_SZ_S10_S11_S12_S13_S14_S15_S16_S17_S18_S19_S1A_NST_IJLi23EEEES1J_NST_IJLi24EEEEEEENS5_IJS1C_S10_S11_S12_S13_S14_S1D_S1E_S1F_S1G_S1H_S17_S18_S1A_S19_S1I_S1J_NST_IJLi26EEEENST_IJLi27ELi28EEEENST_IJLi29EEEEEEENST_IJLi26ELi27ELi28ELi29EEEElEENSB_INS5_IJSR_SP_SP_SR_SG_SG_S2D_S2F_EEENS5_IJSU_SV_SW_SY_SX_SZ_S11_S10_EEENS5_IJS1P_SX_SY_S1Q_S11_S12_NST_IJLi9ELi10EEEES1D_EEENST_IJLi8ELi9ELi10ELi11EEEElEENS5_IJNSB_INS5_IJSK_SP_SP_NSQ_INS5_IJiS2E_NS2A_IiLi64EEEEEELb0EEES2Y_EEENS5_IJSU_SV_SW_SX_SY_EEENS5_IJS1P_SX_SY_NST_IJLi5ELi6ELi7EEEENST_IJLi8ELi9ELi10EEEEEEENST_IJLi5ELi6ELi7ELi8ELi9ELi10EEEElEEEEES35_NS_31BlockToCTileMap_M00_N00_M01_N01ILi128ELi128ES1Y_Lb0EEENS1_30ComputePtrOffsetOfStridedBatchILi1ELi1ELi1EvEELb0ELb1EEEvPKT0_S3D_T1_PT2_T3_T4_T5_iT6_T7_T8_T9_T10_T11_,"axG",@progbits,_ZN2ck16tensor_operation6device12_GLOBAL__N_137kernel_grouped_conv_fwd_dl_multiple_dINS_32GridwiseGemmDlMultipleD_km_kn_mnILi256EDF16_fNS_5TupleIJDF16_EEEDF16_NS0_12element_wise11PassThroughES8_NS7_7AddReluELNS_25InMemoryDataOperationEnumE0ENS_16TensorDescriptorINS5_IJNS_5EmbedINS5_IJiiiiiEEESD_Lb0EEENS_11PassThroughIiEENS_3PadIiiiLb0EEESI_SI_SG_SG_NSC_INS5_IJiiEEESJ_Lb0EEESK_SK_SG_NS_23Merge_v2_magic_divisionINS5_IJiiiiEEEEESN_NS_8RightPadIiiLb0EEESP_NS_7UnMergeISJ_Lb0EEESG_EEENS5_IJNS_8SequenceIJLi0EEEENST_IJLi1EEEENST_IJLi2EEEENST_IJLi3EEEENST_IJLi4EEEENST_IJLi5EEEENST_IJLi6EEEENST_IJLi7EEEENST_IJLi8EEEENST_IJLi9EEEENST_IJLi10EEEENST_IJLi11ELi13ELi15ELi17EEEENST_IJLi12ELi14ELi16ELi18EEEENST_IJLi19EEEENST_IJLi20EEEENST_IJLi22EEEENST_IJLi21EEEEEEENS5_IJNST_IJLi1ELi2ELi3ELi4ELi5EEEES10_S11_S12_S13_S14_NST_IJLi11EEEENST_IJLi12ELi13EEEENST_IJLi14ELi15EEEENST_IJLi16ELi17EEEENST_IJLi18EEEES17_S18_S1A_S19_NST_IJLi23ELi24EEEENST_IJLi25EEEEEEENST_IJLi23ELi25ELi24EEEElEENSB_INS5_IJSR_SP_SP_SR_SG_EEENS5_IJSU_SV_SW_SY_SX_EEENS5_IJNST_IJLi1ELi2EEEESX_SY_NST_IJLi5ELi6EEEES11_EEENST_IJLi5ELi7ELi6EEEElEENSB_INS5_IJSK_SP_SP_EEENS5_IJSU_SV_SW_EEENS5_IJS1P_SX_SY_EEENST_IJLi3ELi4EEEElEELi128ELi128ELi16ELi2ELi4ELi4ELi1ENST_IJLi8ELi2EEEES1Z_NST_IJLi8ELi1ELi1ELi2EEEENST_IJLi2ELi1ELi128ELi1EEEENST_IJLi1ELi2ELi0ELi3EEEES22_NST_IJLi4ELi1ELi1ELi2EEEES22_NST_IJLi1ELi1ELi1ELi2EEEES20_S21_S22_S22_S23_S22_S24_NST_IJLi0ELi1ELi2ELi3ELi4ELi5EEEELi5ELi4EEEDF16_NS5_IJPKDF16_EEEDF16_S8_S8_S9_NSB_INS5_IJSE_SG_SI_SI_SI_SG_SG_SK_SK_SK_SG_SN_SN_SP_SP_SR_SG_SG_NSQ_INS5_IJiNS_17integral_constantIiLi128EEEEEELb0EEENSF_INS2A_IiLi2EEEEEEEENS5_IJSU_SV_SW_SX_SY_SZ_S10_S11_S12_S13_S14_S15_S16_S17_S18_S19_S1A_NST_IJLi23EEEES1J_NST_IJLi24EEEEEEENS5_IJS1C_S10_S11_S12_S13_S14_S1D_S1E_S1F_S1G_S1H_S17_S18_S1A_S19_S1I_S1J_NST_IJLi26EEEENST_IJLi27ELi28EEEENST_IJLi29EEEEEEENST_IJLi26ELi27ELi28ELi29EEEElEENSB_INS5_IJSR_SP_SP_SR_SG_SG_S2D_S2F_EEENS5_IJSU_SV_SW_SY_SX_SZ_S11_S10_EEENS5_IJS1P_SX_SY_S1Q_S11_S12_NST_IJLi9ELi10EEEES1D_EEENST_IJLi8ELi9ELi10ELi11EEEElEENS5_IJNSB_INS5_IJSK_SP_SP_NSQ_INS5_IJiS2E_NS2A_IiLi64EEEEEELb0EEES2Y_EEENS5_IJSU_SV_SW_SX_SY_EEENS5_IJS1P_SX_SY_NST_IJLi5ELi6ELi7EEEENST_IJLi8ELi9ELi10EEEEEEENST_IJLi5ELi6ELi7ELi8ELi9ELi10EEEElEEEEES35_NS_31BlockToCTileMap_M00_N00_M01_N01ILi128ELi128ES1Y_Lb0EEENS1_30ComputePtrOffsetOfStridedBatchILi1ELi1ELi1EvEELb0ELb1EEEvPKT0_S3D_T1_PT2_T3_T4_T5_iT6_T7_T8_T9_T10_T11_,comdat
	.globl	_ZN2ck16tensor_operation6device12_GLOBAL__N_137kernel_grouped_conv_fwd_dl_multiple_dINS_32GridwiseGemmDlMultipleD_km_kn_mnILi256EDF16_fNS_5TupleIJDF16_EEEDF16_NS0_12element_wise11PassThroughES8_NS7_7AddReluELNS_25InMemoryDataOperationEnumE0ENS_16TensorDescriptorINS5_IJNS_5EmbedINS5_IJiiiiiEEESD_Lb0EEENS_11PassThroughIiEENS_3PadIiiiLb0EEESI_SI_SG_SG_NSC_INS5_IJiiEEESJ_Lb0EEESK_SK_SG_NS_23Merge_v2_magic_divisionINS5_IJiiiiEEEEESN_NS_8RightPadIiiLb0EEESP_NS_7UnMergeISJ_Lb0EEESG_EEENS5_IJNS_8SequenceIJLi0EEEENST_IJLi1EEEENST_IJLi2EEEENST_IJLi3EEEENST_IJLi4EEEENST_IJLi5EEEENST_IJLi6EEEENST_IJLi7EEEENST_IJLi8EEEENST_IJLi9EEEENST_IJLi10EEEENST_IJLi11ELi13ELi15ELi17EEEENST_IJLi12ELi14ELi16ELi18EEEENST_IJLi19EEEENST_IJLi20EEEENST_IJLi22EEEENST_IJLi21EEEEEEENS5_IJNST_IJLi1ELi2ELi3ELi4ELi5EEEES10_S11_S12_S13_S14_NST_IJLi11EEEENST_IJLi12ELi13EEEENST_IJLi14ELi15EEEENST_IJLi16ELi17EEEENST_IJLi18EEEES17_S18_S1A_S19_NST_IJLi23ELi24EEEENST_IJLi25EEEEEEENST_IJLi23ELi25ELi24EEEElEENSB_INS5_IJSR_SP_SP_SR_SG_EEENS5_IJSU_SV_SW_SY_SX_EEENS5_IJNST_IJLi1ELi2EEEESX_SY_NST_IJLi5ELi6EEEES11_EEENST_IJLi5ELi7ELi6EEEElEENSB_INS5_IJSK_SP_SP_EEENS5_IJSU_SV_SW_EEENS5_IJS1P_SX_SY_EEENST_IJLi3ELi4EEEElEELi128ELi128ELi16ELi2ELi4ELi4ELi1ENST_IJLi8ELi2EEEES1Z_NST_IJLi8ELi1ELi1ELi2EEEENST_IJLi2ELi1ELi128ELi1EEEENST_IJLi1ELi2ELi0ELi3EEEES22_NST_IJLi4ELi1ELi1ELi2EEEES22_NST_IJLi1ELi1ELi1ELi2EEEES20_S21_S22_S22_S23_S22_S24_NST_IJLi0ELi1ELi2ELi3ELi4ELi5EEEELi5ELi4EEEDF16_NS5_IJPKDF16_EEEDF16_S8_S8_S9_NSB_INS5_IJSE_SG_SI_SI_SI_SG_SG_SK_SK_SK_SG_SN_SN_SP_SP_SR_SG_SG_NSQ_INS5_IJiNS_17integral_constantIiLi128EEEEEELb0EEENSF_INS2A_IiLi2EEEEEEEENS5_IJSU_SV_SW_SX_SY_SZ_S10_S11_S12_S13_S14_S15_S16_S17_S18_S19_S1A_NST_IJLi23EEEES1J_NST_IJLi24EEEEEEENS5_IJS1C_S10_S11_S12_S13_S14_S1D_S1E_S1F_S1G_S1H_S17_S18_S1A_S19_S1I_S1J_NST_IJLi26EEEENST_IJLi27ELi28EEEENST_IJLi29EEEEEEENST_IJLi26ELi27ELi28ELi29EEEElEENSB_INS5_IJSR_SP_SP_SR_SG_SG_S2D_S2F_EEENS5_IJSU_SV_SW_SY_SX_SZ_S11_S10_EEENS5_IJS1P_SX_SY_S1Q_S11_S12_NST_IJLi9ELi10EEEES1D_EEENST_IJLi8ELi9ELi10ELi11EEEElEENS5_IJNSB_INS5_IJSK_SP_SP_NSQ_INS5_IJiS2E_NS2A_IiLi64EEEEEELb0EEES2Y_EEENS5_IJSU_SV_SW_SX_SY_EEENS5_IJS1P_SX_SY_NST_IJLi5ELi6ELi7EEEENST_IJLi8ELi9ELi10EEEEEEENST_IJLi5ELi6ELi7ELi8ELi9ELi10EEEElEEEEES35_NS_31BlockToCTileMap_M00_N00_M01_N01ILi128ELi128ES1Y_Lb0EEENS1_30ComputePtrOffsetOfStridedBatchILi1ELi1ELi1EvEELb0ELb1EEEvPKT0_S3D_T1_PT2_T3_T4_T5_iT6_T7_T8_T9_T10_T11_ ; -- Begin function _ZN2ck16tensor_operation6device12_GLOBAL__N_137kernel_grouped_conv_fwd_dl_multiple_dINS_32GridwiseGemmDlMultipleD_km_kn_mnILi256EDF16_fNS_5TupleIJDF16_EEEDF16_NS0_12element_wise11PassThroughES8_NS7_7AddReluELNS_25InMemoryDataOperationEnumE0ENS_16TensorDescriptorINS5_IJNS_5EmbedINS5_IJiiiiiEEESD_Lb0EEENS_11PassThroughIiEENS_3PadIiiiLb0EEESI_SI_SG_SG_NSC_INS5_IJiiEEESJ_Lb0EEESK_SK_SG_NS_23Merge_v2_magic_divisionINS5_IJiiiiEEEEESN_NS_8RightPadIiiLb0EEESP_NS_7UnMergeISJ_Lb0EEESG_EEENS5_IJNS_8SequenceIJLi0EEEENST_IJLi1EEEENST_IJLi2EEEENST_IJLi3EEEENST_IJLi4EEEENST_IJLi5EEEENST_IJLi6EEEENST_IJLi7EEEENST_IJLi8EEEENST_IJLi9EEEENST_IJLi10EEEENST_IJLi11ELi13ELi15ELi17EEEENST_IJLi12ELi14ELi16ELi18EEEENST_IJLi19EEEENST_IJLi20EEEENST_IJLi22EEEENST_IJLi21EEEEEEENS5_IJNST_IJLi1ELi2ELi3ELi4ELi5EEEES10_S11_S12_S13_S14_NST_IJLi11EEEENST_IJLi12ELi13EEEENST_IJLi14ELi15EEEENST_IJLi16ELi17EEEENST_IJLi18EEEES17_S18_S1A_S19_NST_IJLi23ELi24EEEENST_IJLi25EEEEEEENST_IJLi23ELi25ELi24EEEElEENSB_INS5_IJSR_SP_SP_SR_SG_EEENS5_IJSU_SV_SW_SY_SX_EEENS5_IJNST_IJLi1ELi2EEEESX_SY_NST_IJLi5ELi6EEEES11_EEENST_IJLi5ELi7ELi6EEEElEENSB_INS5_IJSK_SP_SP_EEENS5_IJSU_SV_SW_EEENS5_IJS1P_SX_SY_EEENST_IJLi3ELi4EEEElEELi128ELi128ELi16ELi2ELi4ELi4ELi1ENST_IJLi8ELi2EEEES1Z_NST_IJLi8ELi1ELi1ELi2EEEENST_IJLi2ELi1ELi128ELi1EEEENST_IJLi1ELi2ELi0ELi3EEEES22_NST_IJLi4ELi1ELi1ELi2EEEES22_NST_IJLi1ELi1ELi1ELi2EEEES20_S21_S22_S22_S23_S22_S24_NST_IJLi0ELi1ELi2ELi3ELi4ELi5EEEELi5ELi4EEEDF16_NS5_IJPKDF16_EEEDF16_S8_S8_S9_NSB_INS5_IJSE_SG_SI_SI_SI_SG_SG_SK_SK_SK_SG_SN_SN_SP_SP_SR_SG_SG_NSQ_INS5_IJiNS_17integral_constantIiLi128EEEEEELb0EEENSF_INS2A_IiLi2EEEEEEEENS5_IJSU_SV_SW_SX_SY_SZ_S10_S11_S12_S13_S14_S15_S16_S17_S18_S19_S1A_NST_IJLi23EEEES1J_NST_IJLi24EEEEEEENS5_IJS1C_S10_S11_S12_S13_S14_S1D_S1E_S1F_S1G_S1H_S17_S18_S1A_S19_S1I_S1J_NST_IJLi26EEEENST_IJLi27ELi28EEEENST_IJLi29EEEEEEENST_IJLi26ELi27ELi28ELi29EEEElEENSB_INS5_IJSR_SP_SP_SR_SG_SG_S2D_S2F_EEENS5_IJSU_SV_SW_SY_SX_SZ_S11_S10_EEENS5_IJS1P_SX_SY_S1Q_S11_S12_NST_IJLi9ELi10EEEES1D_EEENST_IJLi8ELi9ELi10ELi11EEEElEENS5_IJNSB_INS5_IJSK_SP_SP_NSQ_INS5_IJiS2E_NS2A_IiLi64EEEEEELb0EEES2Y_EEENS5_IJSU_SV_SW_SX_SY_EEENS5_IJS1P_SX_SY_NST_IJLi5ELi6ELi7EEEENST_IJLi8ELi9ELi10EEEEEEENST_IJLi5ELi6ELi7ELi8ELi9ELi10EEEElEEEEES35_NS_31BlockToCTileMap_M00_N00_M01_N01ILi128ELi128ES1Y_Lb0EEENS1_30ComputePtrOffsetOfStridedBatchILi1ELi1ELi1EvEELb0ELb1EEEvPKT0_S3D_T1_PT2_T3_T4_T5_iT6_T7_T8_T9_T10_T11_
	.p2align	8
	.type	_ZN2ck16tensor_operation6device12_GLOBAL__N_137kernel_grouped_conv_fwd_dl_multiple_dINS_32GridwiseGemmDlMultipleD_km_kn_mnILi256EDF16_fNS_5TupleIJDF16_EEEDF16_NS0_12element_wise11PassThroughES8_NS7_7AddReluELNS_25InMemoryDataOperationEnumE0ENS_16TensorDescriptorINS5_IJNS_5EmbedINS5_IJiiiiiEEESD_Lb0EEENS_11PassThroughIiEENS_3PadIiiiLb0EEESI_SI_SG_SG_NSC_INS5_IJiiEEESJ_Lb0EEESK_SK_SG_NS_23Merge_v2_magic_divisionINS5_IJiiiiEEEEESN_NS_8RightPadIiiLb0EEESP_NS_7UnMergeISJ_Lb0EEESG_EEENS5_IJNS_8SequenceIJLi0EEEENST_IJLi1EEEENST_IJLi2EEEENST_IJLi3EEEENST_IJLi4EEEENST_IJLi5EEEENST_IJLi6EEEENST_IJLi7EEEENST_IJLi8EEEENST_IJLi9EEEENST_IJLi10EEEENST_IJLi11ELi13ELi15ELi17EEEENST_IJLi12ELi14ELi16ELi18EEEENST_IJLi19EEEENST_IJLi20EEEENST_IJLi22EEEENST_IJLi21EEEEEEENS5_IJNST_IJLi1ELi2ELi3ELi4ELi5EEEES10_S11_S12_S13_S14_NST_IJLi11EEEENST_IJLi12ELi13EEEENST_IJLi14ELi15EEEENST_IJLi16ELi17EEEENST_IJLi18EEEES17_S18_S1A_S19_NST_IJLi23ELi24EEEENST_IJLi25EEEEEEENST_IJLi23ELi25ELi24EEEElEENSB_INS5_IJSR_SP_SP_SR_SG_EEENS5_IJSU_SV_SW_SY_SX_EEENS5_IJNST_IJLi1ELi2EEEESX_SY_NST_IJLi5ELi6EEEES11_EEENST_IJLi5ELi7ELi6EEEElEENSB_INS5_IJSK_SP_SP_EEENS5_IJSU_SV_SW_EEENS5_IJS1P_SX_SY_EEENST_IJLi3ELi4EEEElEELi128ELi128ELi16ELi2ELi4ELi4ELi1ENST_IJLi8ELi2EEEES1Z_NST_IJLi8ELi1ELi1ELi2EEEENST_IJLi2ELi1ELi128ELi1EEEENST_IJLi1ELi2ELi0ELi3EEEES22_NST_IJLi4ELi1ELi1ELi2EEEES22_NST_IJLi1ELi1ELi1ELi2EEEES20_S21_S22_S22_S23_S22_S24_NST_IJLi0ELi1ELi2ELi3ELi4ELi5EEEELi5ELi4EEEDF16_NS5_IJPKDF16_EEEDF16_S8_S8_S9_NSB_INS5_IJSE_SG_SI_SI_SI_SG_SG_SK_SK_SK_SG_SN_SN_SP_SP_SR_SG_SG_NSQ_INS5_IJiNS_17integral_constantIiLi128EEEEEELb0EEENSF_INS2A_IiLi2EEEEEEEENS5_IJSU_SV_SW_SX_SY_SZ_S10_S11_S12_S13_S14_S15_S16_S17_S18_S19_S1A_NST_IJLi23EEEES1J_NST_IJLi24EEEEEEENS5_IJS1C_S10_S11_S12_S13_S14_S1D_S1E_S1F_S1G_S1H_S17_S18_S1A_S19_S1I_S1J_NST_IJLi26EEEENST_IJLi27ELi28EEEENST_IJLi29EEEEEEENST_IJLi26ELi27ELi28ELi29EEEElEENSB_INS5_IJSR_SP_SP_SR_SG_SG_S2D_S2F_EEENS5_IJSU_SV_SW_SY_SX_SZ_S11_S10_EEENS5_IJS1P_SX_SY_S1Q_S11_S12_NST_IJLi9ELi10EEEES1D_EEENST_IJLi8ELi9ELi10ELi11EEEElEENS5_IJNSB_INS5_IJSK_SP_SP_NSQ_INS5_IJiS2E_NS2A_IiLi64EEEEEELb0EEES2Y_EEENS5_IJSU_SV_SW_SX_SY_EEENS5_IJS1P_SX_SY_NST_IJLi5ELi6ELi7EEEENST_IJLi8ELi9ELi10EEEEEEENST_IJLi5ELi6ELi7ELi8ELi9ELi10EEEElEEEEES35_NS_31BlockToCTileMap_M00_N00_M01_N01ILi128ELi128ES1Y_Lb0EEENS1_30ComputePtrOffsetOfStridedBatchILi1ELi1ELi1EvEELb0ELb1EEEvPKT0_S3D_T1_PT2_T3_T4_T5_iT6_T7_T8_T9_T10_T11_,@function
_ZN2ck16tensor_operation6device12_GLOBAL__N_137kernel_grouped_conv_fwd_dl_multiple_dINS_32GridwiseGemmDlMultipleD_km_kn_mnILi256EDF16_fNS_5TupleIJDF16_EEEDF16_NS0_12element_wise11PassThroughES8_NS7_7AddReluELNS_25InMemoryDataOperationEnumE0ENS_16TensorDescriptorINS5_IJNS_5EmbedINS5_IJiiiiiEEESD_Lb0EEENS_11PassThroughIiEENS_3PadIiiiLb0EEESI_SI_SG_SG_NSC_INS5_IJiiEEESJ_Lb0EEESK_SK_SG_NS_23Merge_v2_magic_divisionINS5_IJiiiiEEEEESN_NS_8RightPadIiiLb0EEESP_NS_7UnMergeISJ_Lb0EEESG_EEENS5_IJNS_8SequenceIJLi0EEEENST_IJLi1EEEENST_IJLi2EEEENST_IJLi3EEEENST_IJLi4EEEENST_IJLi5EEEENST_IJLi6EEEENST_IJLi7EEEENST_IJLi8EEEENST_IJLi9EEEENST_IJLi10EEEENST_IJLi11ELi13ELi15ELi17EEEENST_IJLi12ELi14ELi16ELi18EEEENST_IJLi19EEEENST_IJLi20EEEENST_IJLi22EEEENST_IJLi21EEEEEEENS5_IJNST_IJLi1ELi2ELi3ELi4ELi5EEEES10_S11_S12_S13_S14_NST_IJLi11EEEENST_IJLi12ELi13EEEENST_IJLi14ELi15EEEENST_IJLi16ELi17EEEENST_IJLi18EEEES17_S18_S1A_S19_NST_IJLi23ELi24EEEENST_IJLi25EEEEEEENST_IJLi23ELi25ELi24EEEElEENSB_INS5_IJSR_SP_SP_SR_SG_EEENS5_IJSU_SV_SW_SY_SX_EEENS5_IJNST_IJLi1ELi2EEEESX_SY_NST_IJLi5ELi6EEEES11_EEENST_IJLi5ELi7ELi6EEEElEENSB_INS5_IJSK_SP_SP_EEENS5_IJSU_SV_SW_EEENS5_IJS1P_SX_SY_EEENST_IJLi3ELi4EEEElEELi128ELi128ELi16ELi2ELi4ELi4ELi1ENST_IJLi8ELi2EEEES1Z_NST_IJLi8ELi1ELi1ELi2EEEENST_IJLi2ELi1ELi128ELi1EEEENST_IJLi1ELi2ELi0ELi3EEEES22_NST_IJLi4ELi1ELi1ELi2EEEES22_NST_IJLi1ELi1ELi1ELi2EEEES20_S21_S22_S22_S23_S22_S24_NST_IJLi0ELi1ELi2ELi3ELi4ELi5EEEELi5ELi4EEEDF16_NS5_IJPKDF16_EEEDF16_S8_S8_S9_NSB_INS5_IJSE_SG_SI_SI_SI_SG_SG_SK_SK_SK_SG_SN_SN_SP_SP_SR_SG_SG_NSQ_INS5_IJiNS_17integral_constantIiLi128EEEEEELb0EEENSF_INS2A_IiLi2EEEEEEEENS5_IJSU_SV_SW_SX_SY_SZ_S10_S11_S12_S13_S14_S15_S16_S17_S18_S19_S1A_NST_IJLi23EEEES1J_NST_IJLi24EEEEEEENS5_IJS1C_S10_S11_S12_S13_S14_S1D_S1E_S1F_S1G_S1H_S17_S18_S1A_S19_S1I_S1J_NST_IJLi26EEEENST_IJLi27ELi28EEEENST_IJLi29EEEEEEENST_IJLi26ELi27ELi28ELi29EEEElEENSB_INS5_IJSR_SP_SP_SR_SG_SG_S2D_S2F_EEENS5_IJSU_SV_SW_SY_SX_SZ_S11_S10_EEENS5_IJS1P_SX_SY_S1Q_S11_S12_NST_IJLi9ELi10EEEES1D_EEENST_IJLi8ELi9ELi10ELi11EEEElEENS5_IJNSB_INS5_IJSK_SP_SP_NSQ_INS5_IJiS2E_NS2A_IiLi64EEEEEELb0EEES2Y_EEENS5_IJSU_SV_SW_SX_SY_EEENS5_IJS1P_SX_SY_NST_IJLi5ELi6ELi7EEEENST_IJLi8ELi9ELi10EEEEEEENST_IJLi5ELi6ELi7ELi8ELi9ELi10EEEElEEEEES35_NS_31BlockToCTileMap_M00_N00_M01_N01ILi128ELi128ES1Y_Lb0EEENS1_30ComputePtrOffsetOfStridedBatchILi1ELi1ELi1EvEELb0ELb1EEEvPKT0_S3D_T1_PT2_T3_T4_T5_iT6_T7_T8_T9_T10_T11_: ; @_ZN2ck16tensor_operation6device12_GLOBAL__N_137kernel_grouped_conv_fwd_dl_multiple_dINS_32GridwiseGemmDlMultipleD_km_kn_mnILi256EDF16_fNS_5TupleIJDF16_EEEDF16_NS0_12element_wise11PassThroughES8_NS7_7AddReluELNS_25InMemoryDataOperationEnumE0ENS_16TensorDescriptorINS5_IJNS_5EmbedINS5_IJiiiiiEEESD_Lb0EEENS_11PassThroughIiEENS_3PadIiiiLb0EEESI_SI_SG_SG_NSC_INS5_IJiiEEESJ_Lb0EEESK_SK_SG_NS_23Merge_v2_magic_divisionINS5_IJiiiiEEEEESN_NS_8RightPadIiiLb0EEESP_NS_7UnMergeISJ_Lb0EEESG_EEENS5_IJNS_8SequenceIJLi0EEEENST_IJLi1EEEENST_IJLi2EEEENST_IJLi3EEEENST_IJLi4EEEENST_IJLi5EEEENST_IJLi6EEEENST_IJLi7EEEENST_IJLi8EEEENST_IJLi9EEEENST_IJLi10EEEENST_IJLi11ELi13ELi15ELi17EEEENST_IJLi12ELi14ELi16ELi18EEEENST_IJLi19EEEENST_IJLi20EEEENST_IJLi22EEEENST_IJLi21EEEEEEENS5_IJNST_IJLi1ELi2ELi3ELi4ELi5EEEES10_S11_S12_S13_S14_NST_IJLi11EEEENST_IJLi12ELi13EEEENST_IJLi14ELi15EEEENST_IJLi16ELi17EEEENST_IJLi18EEEES17_S18_S1A_S19_NST_IJLi23ELi24EEEENST_IJLi25EEEEEEENST_IJLi23ELi25ELi24EEEElEENSB_INS5_IJSR_SP_SP_SR_SG_EEENS5_IJSU_SV_SW_SY_SX_EEENS5_IJNST_IJLi1ELi2EEEESX_SY_NST_IJLi5ELi6EEEES11_EEENST_IJLi5ELi7ELi6EEEElEENSB_INS5_IJSK_SP_SP_EEENS5_IJSU_SV_SW_EEENS5_IJS1P_SX_SY_EEENST_IJLi3ELi4EEEElEELi128ELi128ELi16ELi2ELi4ELi4ELi1ENST_IJLi8ELi2EEEES1Z_NST_IJLi8ELi1ELi1ELi2EEEENST_IJLi2ELi1ELi128ELi1EEEENST_IJLi1ELi2ELi0ELi3EEEES22_NST_IJLi4ELi1ELi1ELi2EEEES22_NST_IJLi1ELi1ELi1ELi2EEEES20_S21_S22_S22_S23_S22_S24_NST_IJLi0ELi1ELi2ELi3ELi4ELi5EEEELi5ELi4EEEDF16_NS5_IJPKDF16_EEEDF16_S8_S8_S9_NSB_INS5_IJSE_SG_SI_SI_SI_SG_SG_SK_SK_SK_SG_SN_SN_SP_SP_SR_SG_SG_NSQ_INS5_IJiNS_17integral_constantIiLi128EEEEEELb0EEENSF_INS2A_IiLi2EEEEEEEENS5_IJSU_SV_SW_SX_SY_SZ_S10_S11_S12_S13_S14_S15_S16_S17_S18_S19_S1A_NST_IJLi23EEEES1J_NST_IJLi24EEEEEEENS5_IJS1C_S10_S11_S12_S13_S14_S1D_S1E_S1F_S1G_S1H_S17_S18_S1A_S19_S1I_S1J_NST_IJLi26EEEENST_IJLi27ELi28EEEENST_IJLi29EEEEEEENST_IJLi26ELi27ELi28ELi29EEEElEENSB_INS5_IJSR_SP_SP_SR_SG_SG_S2D_S2F_EEENS5_IJSU_SV_SW_SY_SX_SZ_S11_S10_EEENS5_IJS1P_SX_SY_S1Q_S11_S12_NST_IJLi9ELi10EEEES1D_EEENST_IJLi8ELi9ELi10ELi11EEEElEENS5_IJNSB_INS5_IJSK_SP_SP_NSQ_INS5_IJiS2E_NS2A_IiLi64EEEEEELb0EEES2Y_EEENS5_IJSU_SV_SW_SX_SY_EEENS5_IJS1P_SX_SY_NST_IJLi5ELi6ELi7EEEENST_IJLi8ELi9ELi10EEEEEEENST_IJLi5ELi6ELi7ELi8ELi9ELi10EEEElEEEEES35_NS_31BlockToCTileMap_M00_N00_M01_N01ILi128ELi128ES1Y_Lb0EEENS1_30ComputePtrOffsetOfStridedBatchILi1ELi1ELi1EvEELb0ELb1EEEvPKT0_S3D_T1_PT2_T3_T4_T5_iT6_T7_T8_T9_T10_T11_
; %bb.0:
	s_clause 0x7
	s_load_b32 s2, s[0:1], 0x24
	s_load_b128 s[48:51], s[0:1], 0x3c
	s_load_b32 s4, s[0:1], 0x300
	s_load_b256 s[36:43], s[0:1], 0x2d8
	s_load_b128 s[56:59], s[0:1], 0x298
	s_load_b128 s[64:67], s[0:1], 0x2ac
	;; [unrolled: 1-line block ×4, first 2 shown]
	v_lshrrev_b32_e32 v86, 1, v0
	s_mov_b32 s47, 0x31004000
	v_dual_mov_b32 v63, 0 :: v_dual_lshlrev_b32 v96, 1, v0
	v_dual_mov_b32 v59, 0 :: v_dual_mov_b32 v42, 0
	v_dual_mov_b32 v45, 0 :: v_dual_mov_b32 v82, 0
	v_dual_mov_b32 v33, 0 :: v_dual_mov_b32 v70, 0
	v_dual_mov_b32 v41, 0 :: v_dual_mov_b32 v48, 0
	s_waitcnt lgkmcnt(0)
	s_abs_i32 s3, s2
	v_dual_mov_b32 v35, 0 :: v_dual_mov_b32 v40, 0
	v_cvt_f32_u32_e32 v1, s3
	s_sub_i32 s6, 0, s3
	s_abs_i32 s7, s4
	s_xor_b32 s2, s4, s2
	v_dual_mov_b32 v83, 0 :: v_dual_mov_b32 v64, 0
	v_rcp_iflag_f32_e32 v1, v1
	s_ashr_i32 s2, s2, 31
	v_dual_mov_b32 v47, 0 :: v_dual_mov_b32 v26, 0
	v_mov_b32_e32 v49, 0
	v_dual_mov_b32 v77, 0 :: v_dual_mov_b32 v56, 0
	v_mov_b32_e32 v81, 0
	v_dual_mov_b32 v75, 0 :: v_dual_mov_b32 v30, 0
	s_waitcnt_depctr 0xfff
	v_mul_f32_e32 v1, 0x4f7ffffe, v1
	v_dual_mov_b32 v43, 0 :: v_dual_mov_b32 v54, 0
	v_dual_mov_b32 v69, 0 :: v_dual_mov_b32 v36, 0
	s_delay_alu instid0(VALU_DEP_3) | instskip(SKIP_2) | instid1(VALU_DEP_3)
	v_cvt_u32_f32_e32 v1, v1
	v_dual_mov_b32 v39, 0 :: v_dual_mov_b32 v78, 0
	v_dual_mov_b32 v65, 0 :: v_dual_mov_b32 v76, 0
	v_readfirstlane_b32 s5, v1
	v_mov_b32_e32 v61, 0
	v_mov_b32_e32 v57, 0
	v_dual_mov_b32 v25, 0 :: v_dual_mov_b32 v72, 0
	s_delay_alu instid0(VALU_DEP_4)
	s_mul_i32 s6, s6, s5
	v_dual_mov_b32 v55, 0 :: v_dual_mov_b32 v28, 0
	s_mul_hi_u32 s6, s5, s6
	v_dual_mov_b32 v31, 0 :: v_dual_mov_b32 v32, 0
	s_add_i32 s5, s5, s6
	v_mov_b32_e32 v53, 0
	s_mul_hi_u32 s5, s7, s5
	v_dual_mov_b32 v37, 0 :: v_dual_mov_b32 v58, 0
	s_mul_i32 s4, s5, s3
	s_add_i32 s6, s5, 1
	s_sub_i32 s4, s7, s4
	v_dual_mov_b32 v71, 0 :: v_dual_mov_b32 v62, 0
	s_sub_i32 s7, s4, s3
	s_cmp_ge_u32 s4, s3
	v_mov_b32_e32 v27, 0
	s_cselect_b32 s5, s6, s5
	s_cselect_b32 s4, s7, s4
	s_add_i32 s6, s5, 1
	s_cmp_ge_u32 s4, s3
	v_mov_b32_e32 v80, 0
	s_cselect_b32 s3, s6, s5
	s_clause 0x3
	s_load_b32 s72, s[0:1], 0x4c
	s_load_b256 s[24:31], s[0:1], 0x0
	s_load_b256 s[16:23], s[0:1], 0x54
	;; [unrolled: 1-line block ×3, first 2 shown]
	s_xor_b32 s3, s3, s2
	s_abs_i32 s13, s15
	s_sub_i32 s3, s3, s2
	s_load_b128 s[52:55], s[0:1], 0x10c
	s_waitcnt lgkmcnt(0)
	s_load_b32 s7, s[0:1], 0x13c
	s_abs_i32 s2, s3
	s_xor_b32 s3, s15, s3
	v_cvt_f32_u32_e32 v1, s2
	s_sub_i32 s12, 0, s2
	s_ashr_i32 s14, s3, 31
	v_mov_b32_e32 v52, 0
	v_mov_b32_e32 v74, 0
	v_rcp_iflag_f32_e32 v1, v1
	v_dual_mov_b32 v46, 0 :: v_dual_mov_b32 v29, 0
	v_dual_mov_b32 v68, 0 :: v_dual_lshlrev_b32 v111, 2, v0
	v_dual_mov_b32 v66, 0 :: v_dual_mov_b32 v79, 0
	v_dual_mov_b32 v44, 0 :: v_dual_mov_b32 v51, 0
	s_waitcnt_depctr 0xfff
	v_dual_mov_b32 v60, 0 :: v_dual_mul_f32 v1, 0x4f7ffffe, v1
	v_and_b32_e32 v103, 0x1f8, v96
	v_and_b32_e32 v96, 0x1fc, v96
	v_mov_b32_e32 v84, 0
	v_mov_b32_e32 v50, 0
	v_cvt_u32_f32_e32 v1, v1
	v_mov_b32_e32 v73, 0
	v_sub_nc_u32_e32 v96, v96, v103
	s_delay_alu instid0(VALU_DEP_3) | instskip(SKIP_1) | instid1(VALU_DEP_2)
	v_readfirstlane_b32 s11, v1
	v_lshlrev_b32_e32 v1, 3, v0
	s_mul_i32 s12, s12, s11
	s_delay_alu instid0(VALU_DEP_1) | instskip(SKIP_1) | instid1(SALU_CYCLE_1)
	v_and_b32_e32 v85, 8, v1
	s_mul_hi_u32 s12, s11, s12
	s_add_i32 s11, s11, s12
	s_delay_alu instid0(SALU_CYCLE_1) | instskip(NEXT) | instid1(VALU_DEP_1)
	s_mul_hi_u32 s11, s13, s11
	v_or_b32_e32 v1, 4, v85
	s_mul_i32 s12, s11, s2
	s_waitcnt lgkmcnt(0)
	v_mul_lo_u32 v95, s7, v85
	s_sub_i32 s3, s13, s12
	s_add_i32 s12, s11, 1
	s_sub_i32 s13, s3, s2
	s_cmp_ge_u32 s3, s2
	v_mul_lo_u32 v97, s7, v1
	s_cselect_b32 s11, s12, s11
	s_cselect_b32 s3, s13, s3
	s_add_i32 s12, s11, 1
	s_cmp_ge_u32 s3, s2
	v_mul_hi_u32 v1, v95, s10
	s_cselect_b32 s2, s12, s11
	v_or_b32_e32 v34, 20, v85
	s_xor_b32 s11, s2, s14
	v_mul_hi_u32 v2, v97, s10
	s_sub_i32 s11, s11, s14
	s_load_b64 s[2:3], s[0:1], 0x88
	s_ashr_i32 s13, s11, 31
	s_mul_hi_u32 s14, s36, s11
	s_mul_i32 s12, s36, s11
	s_mul_hi_u32 s35, s38, s11
	s_mul_hi_u32 s44, s40, s11
	s_mul_i32 s36, s36, s13
	s_mul_i32 s45, s38, s13
	;; [unrolled: 1-line block ×5, first 2 shown]
	s_add_i32 s14, s14, s36
	s_add_i32 s36, s35, s45
	;; [unrolled: 1-line block ×3, first 2 shown]
	s_mul_i32 s33, s37, s11
	s_mul_i32 s37, s39, s11
	s_mul_hi_u32 s39, s42, s11
	s_mul_i32 s34, s40, s11
	s_add_i32 s35, s35, s41
	s_mul_i32 s43, s43, s11
	s_add_i32 s40, s39, s46
	s_lshl_b64 s[34:35], s[34:35], 1
	s_add_i32 s13, s14, s33
	s_add_i32 s39, s36, s37
	;; [unrolled: 1-line block ×3, first 2 shown]
	s_add_u32 s36, s28, s34
	s_addc_u32 s37, s29, s35
	s_load_b64 s[34:35], s[0:1], 0x98
	s_lshl_b64 s[12:13], s[12:13], 1
	s_mul_i32 s38, s38, s11
	s_add_u32 s44, s24, s12
	s_addc_u32 s45, s25, s13
	s_lshl_b64 s[12:13], s[38:39], 1
	s_mul_i32 s42, s42, s11
	s_add_u32 s40, s26, s12
	s_addc_u32 s41, s27, s13
	s_lshl_b64 s[12:13], s[42:43], 1
	s_mul_hi_u32 s11, s67, s15
	s_add_u32 s12, s30, s12
	s_addc_u32 s13, s31, s13
	s_add_i32 s11, s15, s11
	s_load_b32 s14, s[0:1], 0x27c
	s_lshr_b32 s11, s11, s71
	s_load_b32 s46, s[0:1], 0x1c0
	s_mul_hi_u32 s24, s11, s66
	v_add_nc_u32_e32 v1, v95, v1
	s_add_i32 s24, s11, s24
	v_add_nc_u32_e32 v2, v97, v2
	s_lshr_b32 s33, s24, s70
	s_load_b256 s[24:31], s[0:1], 0xb8
	s_waitcnt lgkmcnt(0)
	s_mul_hi_u32 s27, s33, s65
	s_mul_i32 s38, s33, s58
	s_add_i32 s27, s33, s27
	s_sub_i32 s38, s11, s38
	s_lshr_b32 s27, s27, s69
	s_mul_i32 s11, s11, s59
	s_mul_hi_u32 s31, s27, s64
	s_sub_i32 s11, s15, s11
	s_add_i32 s31, s27, s31
	v_lshrrev_b32_e32 v1, s54, v1
	s_lshr_b32 s31, s31, s68
	v_lshrrev_b32_e32 v2, s54, v2
	s_mul_i32 s31, s31, s56
	s_mov_b32 s43, s47
	s_sub_i32 s31, s27, s31
	s_mul_i32 s27, s27, s57
	v_mul_hi_u32 v3, v1, s9
	s_sub_i32 s15, s33, s27
	s_load_b32 s27, s[0:1], 0x238
	s_mul_i32 s31, s31, s14
	v_mul_hi_u32 v4, v2, s9
	s_add_i32 s38, s38, s31
	v_mul_lo_u32 v6, v1, s6
	s_lshl_b32 s31, s38, 7
	v_add_nc_u32_e32 v3, v1, v3
	v_or_b32_e32 v89, s31, v86
	s_load_b64 s[38:39], s[0:1], 0xa8
	v_mul_lo_u32 v7, v2, s6
	v_add_nc_u32_e32 v4, v2, v4
	v_lshrrev_b32_e32 v3, s53, v3
	v_mul_hi_u32 v5, v89, s30
	s_clause 0x2
	s_load_b32 s14, s[0:1], 0x28c
	s_load_b32 s55, s[0:1], 0x198
	;; [unrolled: 1-line block ×3, first 2 shown]
	v_lshrrev_b32_e32 v4, s53, v4
	v_mul_lo_u32 v10, v3, s5
	v_mul_hi_u32 v8, v3, s8
	s_clause 0x1
	s_load_b32 s30, s[0:1], 0x160
	s_load_b32 s42, s[0:1], 0x170
	v_sub_nc_u32_e32 v6, v95, v6
	v_add_nc_u32_e32 v5, v89, v5
	v_mul_hi_u32 v9, v4, s8
	v_mul_lo_u32 v11, v4, s5
	v_sub_nc_u32_e32 v101, v97, v7
	v_sub_nc_u32_e32 v1, v1, v10
	v_lshrrev_b32_e32 v5, s62, v5
	v_add_nc_u32_e32 v8, v3, v8
	v_mul_lo_u32 v7, v6, s72
	v_sub_nc_u32_e32 v6, v101, v6
	v_add_nc_u32_e32 v9, v4, v9
	v_mul_hi_u32 v12, v5, s29
	v_sub_nc_u32_e32 v102, v2, v11
	v_lshrrev_b32_e32 v8, s52, v8
	s_waitcnt lgkmcnt(0)
	s_mul_i32 s15, s15, s14
	v_lshrrev_b32_e32 v105, s52, v9
	s_add_i32 s11, s11, s15
	v_sub_nc_u32_e32 v9, v102, v1
	v_mul_lo_u32 v11, v8, s4
	v_add_nc_u32_e32 v2, v5, v12
	v_mul_lo_u32 v12, v105, s4
	v_sub_nc_u32_e32 v13, v105, v8
	v_mul_lo_u32 v91, v9, s38
	v_mul_lo_u32 v1, v1, s38
	v_lshrrev_b32_e32 v10, s61, v2
	v_mul_lo_u32 v2, v8, s2
	v_sub_nc_u32_e32 v8, v3, v11
	v_mul_lo_u32 v11, v5, s26
	v_sub_nc_u32_e32 v106, v4, v12
	v_mul_hi_u32 v9, v10, s28
	v_mul_lo_u32 v12, v10, s25
	v_mul_lo_u32 v90, v13, s2
	;; [unrolled: 1-line block ×5, first 2 shown]
	v_sub_nc_u32_e32 v11, v89, v11
	s_lshl_b32 s33, s11, 7
	v_add_nc_u32_e32 v9, v10, v9
	v_sub_nc_u32_e32 v5, v5, v12
	v_or_b32_e32 v107, s33, v86
	v_mad_u64_u32 v[21:22], null, v11, s39, v[1:2]
	s_delay_alu instid0(VALU_DEP_4) | instskip(NEXT) | instid1(VALU_DEP_4)
	v_lshrrev_b32_e32 v9, s60, v9
	v_mad_u64_u32 v[19:20], null, v5, s35, v[3:4]
	v_mul_lo_u32 v3, v90, s49
	v_mul_lo_u32 v6, v6, s72
	s_delay_alu instid0(VALU_DEP_4)
	v_mul_lo_u32 v13, v9, s24
	v_subrev_nc_u32_e32 v5, s23, v21
	v_sub_nc_u32_e32 v8, v106, v8
	s_lshl_b32 s39, s55, 2
	v_or_b32_e32 v22, 16, v85
	v_mul_lo_u32 v109, s7, v34
	v_lshlrev_b32_e32 v86, 2, v86
	v_mul_lo_u32 v93, v8, s34
	v_sub_nc_u32_e32 v1, v10, v13
	v_subrev_nc_u32_e32 v10, s20, v19
	v_mul_lo_u32 v108, s7, v22
	s_load_b32 s28, s[0:1], 0x260
	v_add_nc_u32_e32 v91, v21, v91
	v_mad_u64_u32 v[17:18], null, v1, s3, v[2:3]
	v_mad_u64_u32 v[1:2], null, v107, s42, v[23:24]
	v_mul_lo_u32 v2, v5, s51
	v_mul_lo_u32 v5, v10, s50
	v_add3_u32 v3, v4, v6, v3
	v_mul_lo_u32 v4, v9, s48
	v_subrev_nc_u32_e32 v10, s17, v17
	s_lshl_b32 s42, s46, 1
	v_add_nc_u32_e32 v94, s39, v1
	v_lshlrev_b32_e32 v1, 1, v1
	s_lshl_b32 s46, s30, 1
	v_mul_lo_u32 v6, v10, s49
	v_add3_u32 v2, v2, v7, v5
	v_lshlrev_b32_e32 v7, 1, v94
	v_mul_lo_u32 v5, v93, s50
	buffer_load_b128 v[9:12], v1, s[40:43], 0 offen
	v_mul_hi_u32 v38, v108, s10
	v_mul_hi_u32 v88, v109, s10
	buffer_load_b128 v[13:16], v7, s[40:43], 0 offen
	v_add3_u32 v1, v2, v4, v6
	v_mov_b32_e32 v67, 0
	s_sub_i32 s22, s22, s56
	s_sub_i32 s16, s16, s18
	;; [unrolled: 1-line block ×3, first 2 shown]
	v_add3_u32 v92, v3, v5, v1
	v_add_nc_u32_e32 v88, v109, v88
	v_lshlrev_b32_e32 v1, 1, v1
	v_dual_mov_b32 v18, 0 :: v_dual_add_nc_u32 v87, v108, v38
	s_delay_alu instid0(VALU_DEP_4)
	v_lshlrev_b32_e32 v2, 1, v92
	s_clause 0x1
	buffer_load_b128 v[5:8], v1, s[44:47], 0 offen
	buffer_load_b128 v[1:4], v2, s[44:47], 0 offen
	v_lshrrev_b32_e32 v98, s54, v87
	v_lshrrev_b32_e32 v110, s54, v88
	;; [unrolled: 1-line block ×3, first 2 shown]
	s_clause 0x1
	s_load_b32 s11, s[0:1], 0x120
	s_load_b32 s7, s[0:1], 0x12c
	v_lshl_or_b32 v0, v85, 9, v86
	v_mul_hi_u32 v87, v98, s9
	v_mul_hi_u32 v99, v110, s9
	s_clause 0x7
	s_load_b32 s10, s[0:1], 0x17c
	s_load_b32 s48, s[0:1], 0x188
	s_load_b64 s[14:15], s[0:1], 0x1d0
	s_load_b32 s29, s[0:1], 0x1dc
	s_load_b32 s30, s[0:1], 0x1e8
	;; [unrolled: 1-line block ×3, first 2 shown]
	s_load_b64 s[24:25], s[0:1], 0x220
	s_load_b32 s26, s[0:1], 0x22c
	v_cmp_gt_i32_e64 s9, s22, v21
	v_mov_b32_e32 v20, 0
	v_mov_b32_e32 v22, 0
	v_dual_mov_b32 v24, 0 :: v_dual_add_nc_u32 v87, v98, v87
	v_dual_mov_b32 v34, 0 :: v_dual_add_nc_u32 v99, v110, v99
	v_mov_b32_e32 v38, 0
	s_delay_alu instid0(VALU_DEP_3) | instskip(SKIP_1) | instid1(VALU_DEP_4)
	v_lshrrev_b32_e32 v100, s53, v87
	v_lshlrev_b32_e32 v87, 6, v88
	v_lshrrev_b32_e32 v112, s53, v99
	v_lshl_add_u32 v88, v88, 3, v96
	v_mul_lo_u32 v96, v98, s6
	v_mul_hi_u32 v104, v100, s8
	v_sub_nc_u32_e32 v87, v103, v87
	v_mul_hi_u32 v99, v112, s8
	v_mul_lo_u32 v103, v100, s5
	s_waitcnt lgkmcnt(0)
	v_cmp_gt_i32_e32 vcc_lo, s7, v95
	s_mul_i32 s8, s55, 12
	v_and_or_b32 v87, v111, 4, v87
	v_sub_nc_u32_e32 v96, v108, v96
	v_add_nc_u32_e32 v85, v100, v104
	v_cmp_gt_i32_e64 s0, s7, v108
	v_add_nc_u32_e32 v113, v112, v99
	v_sub_nc_u32_e32 v95, v98, v103
	v_mad_u64_u32 v[98:99], null, v110, s6, v[96:97]
	v_lshrrev_b32_e32 v111, s52, v85
	s_delay_alu instid0(VALU_DEP_4) | instskip(NEXT) | instid1(VALU_DEP_4)
	v_lshrrev_b32_e32 v99, s52, v113
	v_sub_nc_u32_e32 v113, v95, v102
	v_mad_u64_u32 v[102:103], null, v112, s5, v[95:96]
	s_delay_alu instid0(VALU_DEP_4)
	v_mul_lo_u32 v104, v111, s4
	v_sub_nc_u32_e32 v95, v111, v105
	v_sub_nc_u32_e32 v98, v109, v98
	v_cmp_gt_i32_e64 s3, s48, v23
	v_cmp_gt_i32_e64 s1, s7, v109
	;; [unrolled: 1-line block ×3, first 2 shown]
	v_sub_nc_u32_e32 v102, v110, v102
	v_mul_lo_u32 v98, v98, s72
	v_sub_nc_u32_e32 v100, v100, v104
	v_add_nc_u32_e32 v94, s8, v94
	s_and_b32 s3, s3, s5
	v_mul_lo_u32 v102, v102, s38
	v_cmp_le_i32_e64 s10, s23, v91
	v_mad_u64_u32 v[103:104], null, v99, s4, v[100:101]
	v_sub_nc_u32_e32 v99, v99, v111
	v_sub_nc_u32_e32 v104, v96, v101
	v_mul_lo_u32 v96, v95, s2
	v_mul_lo_u32 v101, v113, s38
	v_sub_nc_u32_e32 v100, v100, v106
	v_mul_lo_u32 v95, v99, s2
	v_sub_nc_u32_e32 v103, v112, v103
	v_add_nc_u32_e32 v112, s39, v23
	v_mul_lo_u32 v105, v104, s72
	v_cmp_gt_i32_e64 s2, s7, v97
	v_mul_lo_u32 v100, v100, s34
	v_mul_lo_u32 v99, v103, s34
	v_add_nc_u32_e32 v108, s8, v112
	v_mul_lo_u32 v111, v95, s49
	v_cmp_gt_i32_e64 s4, s48, v112
	v_cmp_le_i32_e64 s8, s23, v21
	v_lshlrev_b32_e32 v21, 1, v94
	v_cmp_gt_i32_e64 s7, s48, v108
	v_mul_lo_u32 v110, v101, s51
	v_mad_u64_u32 v[103:104], null, v102, s51, v[98:99]
	v_mul_lo_u32 v104, v99, s50
	s_and_b32 s4, s4, s5
	s_and_b32 s7, s7, s5
	;; [unrolled: 1-line block ×3, first 2 shown]
	v_mul_lo_u32 v106, v96, s49
	s_and_b32 s18, vcc_lo, s8
	v_mul_lo_u32 v98, v100, s50
	v_lshlrev_b32_e32 v86, 2, v87
	v_add3_u32 v23, v103, v111, v104
	v_add_nc_u32_e32 v103, s39, v108
	v_lshlrev_b32_e32 v85, 2, v88
	s_lshl_b32 s38, s35, 1
	v_add3_u32 v97, v110, v105, v106
	s_delay_alu instid0(VALU_DEP_3) | instskip(NEXT) | instid1(VALU_DEP_1)
	v_cmp_gt_i32_e64 s6, s48, v103
	s_and_b32 s5, s6, s5
	v_cmp_gt_i32_e64 s6, s11, v89
	v_add_nc_u32_e32 v89, v91, v101
	v_cmp_gt_i32_e64 s11, s22, v91
	v_add_lshl_u32 v91, v94, s39, 1
	s_mov_b32 s39, s47
	s_delay_alu instid0(VALU_DEP_3) | instskip(SKIP_4) | instid1(SALU_CYCLE_1)
	v_add_nc_u32_e32 v94, v89, v102
	v_cmp_le_i32_e32 vcc_lo, s23, v89
	v_cmp_gt_i32_e64 s8, s22, v89
	v_add_nc_u32_e32 v89, v19, v93
	s_and_b32 s9, s10, s11
	s_and_b32 s10, s2, s9
	v_cmp_le_i32_e64 s2, s23, v94
	v_cmp_gt_i32_e64 s9, s22, v94
	s_and_b32 s11, vcc_lo, s8
	v_cmp_le_i32_e32 vcc_lo, s20, v19
	v_cmp_gt_i32_e64 s8, s19, v19
	v_add_nc_u32_e32 v19, v89, v100
	s_and_b32 s21, s2, s9
	v_cmp_le_i32_e64 s2, s20, v89
	v_cmp_gt_i32_e64 s9, s19, v89
	s_and_b32 s11, s0, s11
	s_and_b32 s21, s1, s21
	s_and_b32 s1, vcc_lo, s8
	v_cmp_le_i32_e32 vcc_lo, s20, v19
	v_cmp_gt_i32_e64 s0, s19, v19
	v_add_nc_u32_e32 v89, v19, v99
	s_and_b32 s2, s2, s9
	v_add_nc_u32_e32 v19, v17, v90
	s_and_b32 s8, s18, s1
	s_and_b32 s0, vcc_lo, s0
	s_and_b32 s9, s10, s2
	v_cmp_le_i32_e64 s1, s20, v89
	v_cmp_gt_i32_e64 s2, s19, v89
	s_and_b32 s10, s11, s0
	v_cmp_le_i32_e32 vcc_lo, s17, v17
	v_cmp_gt_i32_e64 s0, s16, v17
	v_add_nc_u32_e32 v17, v19, v96
	s_and_b32 s11, s1, s2
	v_cmp_le_i32_e64 s1, s17, v19
	v_cmp_gt_i32_e64 s2, s16, v19
	s_and_b32 s0, vcc_lo, s0
	v_add_nc_u32_e32 v19, v17, v95
	s_and_b32 s8, s8, s0
	v_cmp_le_i32_e32 vcc_lo, s17, v17
	v_cmp_gt_i32_e64 s0, s16, v17
	v_add3_u32 v17, v97, v98, v92
	s_and_b32 s18, s1, s2
	s_and_b32 s8, s6, s8
	;; [unrolled: 1-line block ×3, first 2 shown]
	v_cmp_le_i32_e64 s1, s17, v19
	v_cmp_gt_i32_e64 s2, s16, v19
	v_lshlrev_b32_e32 v19, 1, v17
	s_and_b32 s9, s6, s9
	v_add_lshl_u32 v17, v23, v17, 1
	s_and_b32 s11, s21, s11
	s_and_b32 s1, s1, s2
	s_and_b32 s0, vcc_lo, s0
	s_and_b32 s1, s11, s1
	s_and_b32 s0, s10, s0
	s_and_b32 vcc_lo, s6, s1
	s_and_b32 s0, s6, s0
	s_waitcnt vmcnt(3)
	v_cndmask_b32_e64 v10, 0, v10, s3
	v_cndmask_b32_e64 v9, 0, v9, s3
	;; [unrolled: 1-line block ×3, first 2 shown]
	s_waitcnt vmcnt(2)
	v_cndmask_b32_e64 v16, 0, v16, s4
	v_cndmask_b32_e64 v15, 0, v15, s4
	;; [unrolled: 1-line block ×5, first 2 shown]
	ds_store_2addr_stride64_b32 v0, v9, v10 offset0:64 offset1:66
	ds_store_2addr_stride64_b32 v0, v11, v12 offset0:68 offset1:70
	;; [unrolled: 1-line block ×3, first 2 shown]
	s_add_i32 s4, s25, s24
	s_waitcnt vmcnt(1)
	v_cndmask_b32_e64 v6, 0, v6, s8
	v_cndmask_b32_e64 v5, 0, v5, s8
	;; [unrolled: 1-line block ×4, first 2 shown]
	s_waitcnt vmcnt(0)
	v_cndmask_b32_e64 v2, 0, v2, s9
	v_cndmask_b32_e64 v1, 0, v1, s9
	;; [unrolled: 1-line block ×4, first 2 shown]
	ds_store_2addr_stride64_b32 v0, v15, v16 offset0:76 offset1:78
	ds_store_2addr_stride64_b32 v0, v5, v6 offset1:2
	ds_store_2addr_stride64_b32 v0, v7, v8 offset0:4 offset1:6
	ds_store_2addr_stride64_b32 v0, v1, v2 offset0:8 offset1:10
	;; [unrolled: 1-line block ×3, first 2 shown]
	s_waitcnt lgkmcnt(0)
	s_barrier
	s_clause 0x1
	buffer_load_b128 v[3:6], v19, s[44:47], 0 offen
	buffer_load_b128 v[7:10], v17, s[44:47], 0 offen
	s_clause 0x1
	buffer_load_b128 v[11:14], v21, s[40:43], 0 offen
	buffer_load_b128 v[89:92], v91, s[40:43], 0 offen
	ds_load_b128 v[93:96], v86 offset:16384
	ds_load_b128 v[97:100], v86 offset:16640
	ds_load_b128 v[101:104], v85
	ds_load_b128 v[105:108], v85 offset:256
	ds_load_b128 v[109:112], v86 offset:16896
	;; [unrolled: 1-line block ×21, first 2 shown]
	s_waitcnt lgkmcnt(20)
	v_dot2acc_f32_f16 v20, v105, v96
	v_dot2acc_f32_f16 v79, v101, v93
	;; [unrolled: 1-line block ×4, first 2 shown]
	v_dual_dot2acc_f32_f16 v52, v101, v96 :: v_dual_dot2acc_f32_f16 v73, v102, v93
	v_dot2acc_f32_f16 v74, v102, v94
	v_dot2acc_f32_f16 v45, v102, v95
	;; [unrolled: 1-line block ×6, first 2 shown]
	v_dual_dot2acc_f32_f16 v44, v103, v96 :: v_dual_dot2acc_f32_f16 v59, v104, v93
	v_dot2acc_f32_f16 v60, v104, v94
	v_dot2acc_f32_f16 v33, v104, v95
	v_dual_dot2acc_f32_f16 v35, v104, v96 :: v_dual_dot2acc_f32_f16 v30, v107, v95
	v_dot2acc_f32_f16 v84, v101, v97
	v_dual_dot2acc_f32_f16 v83, v101, v98 :: v_dual_dot2acc_f32_f16 v54, v108, v93
	v_dual_dot2acc_f32_f16 v49, v101, v99 :: v_dual_dot2acc_f32_f16 v72, v106, v97
	v_dot2acc_f32_f16 v50, v101, v100
	v_dot2acc_f32_f16 v82, v102, v97
	v_dual_dot2acc_f32_f16 v81, v102, v98 :: v_dual_dot2acc_f32_f16 v36, v108, v95
	v_dual_dot2acc_f32_f16 v47, v102, v99 :: v_dual_dot2acc_f32_f16 v78, v105, v97
	;; [unrolled: 1-line block ×3, first 2 shown]
	v_dot2acc_f32_f16 v76, v105, v98
	v_dual_dot2acc_f32_f16 v75, v103, v98 :: v_dual_dot2acc_f32_f16 v22, v105, v99
	v_dot2acc_f32_f16 v42, v103, v99
	v_dual_dot2acc_f32_f16 v43, v103, v100 :: v_dual_dot2acc_f32_f16 v58, v108, v97
	;; [unrolled: 2-line block ×3, first 2 shown]
	v_dual_dot2acc_f32_f16 v39, v104, v99 :: v_dual_dot2acc_f32_f16 v28, v106, v100
	v_dot2acc_f32_f16 v40, v104, v100
	v_dot2acc_f32_f16 v64, v105, v93
	v_dual_dot2acc_f32_f16 v65, v105, v94 :: v_dual_dot2acc_f32_f16 v32, v107, v99
	v_dual_dot2acc_f32_f16 v18, v105, v95 :: v_dual_dot2acc_f32_f16 v61, v106, v93
	;; [unrolled: 1-line block ×3, first 2 shown]
	v_dot2acc_f32_f16 v38, v108, v99
	v_dual_dot2acc_f32_f16 v25, v106, v95 :: v_dual_dot2acc_f32_f16 v62, v108, v98
	v_dual_dot2acc_f32_f16 v26, v106, v96 :: v_dual_dot2acc_f32_f16 v55, v107, v93
	s_waitcnt lgkmcnt(17)
	v_dot2acc_f32_f16 v80, v117, v110
	v_dot2acc_f32_f16 v56, v107, v94
	v_dual_dot2acc_f32_f16 v31, v107, v96 :: v_dual_dot2acc_f32_f16 v74, v118, v110
	v_dual_dot2acc_f32_f16 v53, v108, v94 :: v_dual_dot2acc_f32_f16 v52, v117, v112
	;; [unrolled: 1-line block ×14, first 2 shown]
	s_waitcnt lgkmcnt(16)
	v_dual_dot2acc_f32_f16 v33, v120, v111 :: v_dual_dot2acc_f32_f16 v64, v121, v109
	v_dual_dot2acc_f32_f16 v35, v120, v112 :: v_dual_dot2acc_f32_f16 v18, v121, v111
	;; [unrolled: 1-line block ×17, first 2 shown]
	s_waitcnt lgkmcnt(13)
	v_dual_dot2acc_f32_f16 v53, v124, v110 :: v_dual_dot2acc_f32_f16 v52, v133, v128
	v_dual_dot2acc_f32_f16 v37, v124, v112 :: v_dual_dot2acc_f32_f16 v80, v133, v126
	;; [unrolled: 1-line block ×7, first 2 shown]
	ds_load_b128 v[101:104], v86 offset:19456
	ds_load_b128 v[93:96], v86 offset:19712
	;; [unrolled: 1-line block ×4, first 2 shown]
	v_dual_dot2acc_f32_f16 v79, v133, v125 :: v_dual_dot2acc_f32_f16 v68, v135, v126
	v_dual_dot2acc_f32_f16 v51, v133, v127 :: v_dual_dot2acc_f32_f16 v44, v135, v128
	;; [unrolled: 1-line block ×10, first 2 shown]
	s_waitcnt lgkmcnt(16)
	v_dual_dot2acc_f32_f16 v81, v134, v130 :: v_dual_dot2acc_f32_f16 v64, v137, v125
	v_dual_dot2acc_f32_f16 v47, v134, v131 :: v_dual_dot2acc_f32_f16 v20, v137, v128
	;; [unrolled: 1-line block ×19, first 2 shown]
	s_waitcnt lgkmcnt(13)
	v_dual_dot2acc_f32_f16 v29, v140, v132 :: v_dual_dot2acc_f32_f16 v80, v149, v142
	v_dual_dot2acc_f32_f16 v79, v149, v141 :: v_dual_dot2acc_f32_f16 v74, v150, v142
	;; [unrolled: 1-line block ×14, first 2 shown]
	s_waitcnt lgkmcnt(12)
	v_dual_dot2acc_f32_f16 v75, v151, v146 :: v_dual_dot2acc_f32_f16 v64, v153, v141
	v_dual_dot2acc_f32_f16 v42, v151, v147 :: v_dual_dot2acc_f32_f16 v69, v152, v146
	;; [unrolled: 1-line block ×17, first 2 shown]
	s_waitcnt lgkmcnt(9)
	v_dual_dot2acc_f32_f16 v58, v156, v145 :: v_dual_dot2acc_f32_f16 v51, v165, v159
	v_dual_dot2acc_f32_f16 v62, v156, v146 :: v_dual_dot2acc_f32_f16 v79, v165, v157
	;; [unrolled: 1-line block ×15, first 2 shown]
	s_waitcnt lgkmcnt(8)
	v_dual_dot2acc_f32_f16 v42, v167, v163 :: v_dual_dot2acc_f32_f16 v65, v169, v158
	v_dual_dot2acc_f32_f16 v43, v167, v164 :: v_dual_dot2acc_f32_f16 v70, v168, v161
	;; [unrolled: 1-line block ×14, first 2 shown]
	s_waitcnt lgkmcnt(5)
	v_dual_dot2acc_f32_f16 v24, v169, v164 :: v_dual_dot2acc_f32_f16 v73, v182, v173
	v_dual_dot2acc_f32_f16 v72, v170, v161 :: v_dual_dot2acc_f32_f16 v29, v172, v164
	;; [unrolled: 1-line block ×17, first 2 shown]
	s_waitcnt lgkmcnt(4)
	v_dual_dot2acc_f32_f16 v50, v181, v180 :: v_dual_dot2acc_f32_f16 v61, v186, v173
	v_dual_dot2acc_f32_f16 v82, v182, v177 :: v_dual_dot2acc_f32_f16 v43, v183, v180
	v_dual_dot2acc_f32_f16 v48, v182, v180 :: v_dual_dot2acc_f32_f16 v65, v185, v174
	v_dual_dot2acc_f32_f16 v42, v183, v179 :: v_dual_dot2acc_f32_f16 v57, v186, v174
	v_dual_dot2acc_f32_f16 v70, v184, v177 :: v_dual_dot2acc_f32_f16 v25, v186, v175
	v_dual_dot2acc_f32_f16 v40, v184, v180 :: v_dual_dot2acc_f32_f16 v55, v187, v173
	v_dual_dot2acc_f32_f16 v64, v185, v173 :: v_dual_dot2acc_f32_f16 v31, v187, v176
	v_dual_dot2acc_f32_f16 v18, v185, v175 :: v_dual_dot2acc_f32_f16 v53, v188, v174
	v_dual_dot2acc_f32_f16 v20, v185, v176 :: v_dual_dot2acc_f32_f16 v71, v186, v178
	v_dual_dot2acc_f32_f16 v26, v186, v176 :: v_dual_dot2acc_f32_f16 v67, v187, v177
	v_dual_dot2acc_f32_f16 v56, v187, v174 :: v_dual_dot2acc_f32_f16 v37, v188, v176
	v_dual_dot2acc_f32_f16 v30, v187, v175 :: v_dual_dot2acc_f32_f16 v29, v188, v180
	v_dual_dot2acc_f32_f16 v54, v188, v173 :: v_dual_dot2acc_f32_f16 v27, v186, v179
	v_dual_dot2acc_f32_f16 v36, v188, v175 :: v_dual_dot2acc_f32_f16 v63, v187, v178
	v_dot2acc_f32_f16 v78, v185, v177
	v_dot2acc_f32_f16 v76, v185, v178
	s_waitcnt lgkmcnt(1)
	v_dual_dot2acc_f32_f16 v22, v185, v179 :: v_dual_dot2acc_f32_f16 v73, v98, v101
	v_dual_dot2acc_f32_f16 v24, v185, v180 :: v_dual_dot2acc_f32_f16 v45, v98, v103
	;; [unrolled: 1-line block ×11, first 2 shown]
	s_waitcnt vmcnt(3)
	v_cndmask_b32_e64 v1, 0, v6, s0
	v_cndmask_b32_e64 v2, 0, v5, s0
	v_cndmask_b32_e64 v6, 0, v3, s0
	s_waitcnt vmcnt(2)
	v_cndmask_b32_e32 v3, 0, v10, vcc_lo
	v_dual_cndmask_b32 v5, 0, v9 :: v_dual_cndmask_b32 v8, 0, v8
	v_dot2acc_f32_f16 v47, v98, v95
	v_dual_cndmask_b32 v10, 0, v7 :: v_dual_dot2acc_f32_f16 v77, v99, v93
	s_waitcnt vmcnt(1)
	v_cndmask_b32_e64 v7, 0, v14, s7
	v_cndmask_b32_e64 v9, 0, v13, s7
	;; [unrolled: 1-line block ×3, first 2 shown]
	s_waitcnt vmcnt(0)
	v_cndmask_b32_e64 v11, 0, v92, s5
	v_cndmask_b32_e64 v13, 0, v91, s5
	;; [unrolled: 1-line block ×4, first 2 shown]
	v_dual_dot2acc_f32_f16 v74, v98, v102 :: v_dual_dot2acc_f32_f16 v43, v99, v96
	v_dual_dot2acc_f32_f16 v46, v98, v104 :: v_dual_dot2acc_f32_f16 v75, v99, v94
	v_dual_dot2acc_f32_f16 v66, v99, v101 :: v_dual_dot2acc_f32_f16 v69, v100, v94
	v_dual_dot2acc_f32_f16 v68, v99, v102 :: v_dual_dot2acc_f32_f16 v39, v100, v95
	s_waitcnt lgkmcnt(0)
	v_dual_dot2acc_f32_f16 v44, v99, v104 :: v_dual_dot2acc_f32_f16 v65, v105, v102
	v_dual_dot2acc_f32_f16 v60, v100, v102 :: v_dual_dot2acc_f32_f16 v61, v106, v101
	;; [unrolled: 1-line block ×9, first 2 shown]
	ds_load_b128 v[89:92], v85 offset:3584
	v_dual_dot2acc_f32_f16 v64, v105, v101 :: v_dual_dot2acc_f32_f16 v37, v108, v104
	v_dual_dot2acc_f32_f16 v18, v105, v103 :: v_dual_dot2acc_f32_f16 v67, v107, v93
	;; [unrolled: 1-line block ×4, first 2 shown]
	ds_load_b128 v[97:100], v86 offset:19968
	v_dot2acc_f32_f16 v78, v105, v93
	v_dot2acc_f32_f16 v76, v105, v94
	v_dot2acc_f32_f16 v22, v105, v95
	v_dot2acc_f32_f16 v24, v105, v96
	v_dot2acc_f32_f16 v72, v106, v93
	v_dot2acc_f32_f16 v28, v106, v96
	v_dot2acc_f32_f16 v32, v107, v95
	v_dot2acc_f32_f16 v34, v107, v96
	v_dot2acc_f32_f16 v58, v108, v93
	v_dot2acc_f32_f16 v62, v108, v94
	v_dot2acc_f32_f16 v38, v108, v95
	ds_load_b128 v[93:96], v85 offset:3840
	v_dot2acc_f32_f16 v26, v106, v104
	v_dot2acc_f32_f16 v30, v107, v103
	;; [unrolled: 1-line block ×4, first 2 shown]
	ds_load_b128 v[101:104], v86 offset:20224
	ds_load_b128 v[105:108], v86 offset:20480
	v_cndmask_b32_e64 v4, 0, v4, s0
	s_waitcnt lgkmcnt(3)
	v_dot2acc_f32_f16 v79, v89, v97
	v_dot2acc_f32_f16 v80, v89, v98
	v_dot2acc_f32_f16 v51, v89, v99
	v_dual_dot2acc_f32_f16 v52, v89, v100 :: v_dual_dot2acc_f32_f16 v73, v90, v97
	v_dot2acc_f32_f16 v74, v90, v98
	v_dot2acc_f32_f16 v45, v90, v99
	;; [unrolled: 1-line block ×6, first 2 shown]
	s_waitcnt lgkmcnt(2)
	v_dual_dot2acc_f32_f16 v44, v91, v100 :: v_dual_dot2acc_f32_f16 v25, v94, v99
	v_dot2acc_f32_f16 v59, v92, v97
	v_dual_dot2acc_f32_f16 v60, v92, v98 :: v_dual_dot2acc_f32_f16 v31, v95, v100
	v_dot2acc_f32_f16 v33, v92, v99
	s_waitcnt lgkmcnt(1)
	v_dual_dot2acc_f32_f16 v35, v92, v100 :: v_dual_dot2acc_f32_f16 v84, v89, v101
	v_dot2acc_f32_f16 v53, v96, v98
	v_dot2acc_f32_f16 v83, v89, v102
	;; [unrolled: 1-line block ×3, first 2 shown]
	v_dual_dot2acc_f32_f16 v50, v89, v104 :: v_dual_dot2acc_f32_f16 v71, v94, v102
	v_dual_dot2acc_f32_f16 v82, v90, v101 :: v_dual_dot2acc_f32_f16 v37, v96, v100
	v_dot2acc_f32_f16 v81, v90, v102
	v_dot2acc_f32_f16 v47, v90, v103
	v_dual_dot2acc_f32_f16 v48, v90, v104 :: v_dual_dot2acc_f32_f16 v67, v95, v101
	v_dot2acc_f32_f16 v77, v91, v101
	v_dot2acc_f32_f16 v75, v91, v102
	v_dual_dot2acc_f32_f16 v42, v91, v103 :: v_dual_dot2acc_f32_f16 v29, v96, v104
	v_dual_dot2acc_f32_f16 v43, v91, v104 :: v_dual_dot2acc_f32_f16 v70, v92, v101
	v_dot2acc_f32_f16 v27, v94, v103
	v_dot2acc_f32_f16 v69, v92, v102
	;; [unrolled: 1-line block ×3, first 2 shown]
	v_dual_dot2acc_f32_f16 v40, v92, v104 :: v_dual_dot2acc_f32_f16 v63, v95, v102
	ds_load_b128 v[89:92], v85 offset:4096
	v_dot2acc_f32_f16 v64, v93, v97
	v_dot2acc_f32_f16 v65, v93, v98
	;; [unrolled: 1-line block ×3, first 2 shown]
	v_dual_dot2acc_f32_f16 v20, v93, v100 :: v_dual_dot2acc_f32_f16 v61, v94, v97
	v_dot2acc_f32_f16 v57, v94, v98
	v_dual_dot2acc_f32_f16 v26, v94, v100 :: v_dual_dot2acc_f32_f16 v55, v95, v97
	v_dot2acc_f32_f16 v56, v95, v98
	v_dot2acc_f32_f16 v30, v95, v99
	;; [unrolled: 1-line block ×4, first 2 shown]
	ds_load_b128 v[97:100], v86 offset:20736
	v_dot2acc_f32_f16 v78, v93, v101
	v_dot2acc_f32_f16 v76, v93, v102
	;; [unrolled: 1-line block ×11, first 2 shown]
	ds_load_b128 v[93:96], v85 offset:4352
	s_waitcnt lgkmcnt(2)
	v_dot2acc_f32_f16 v79, v89, v105
	v_dot2acc_f32_f16 v80, v89, v106
	;; [unrolled: 1-line block ×3, first 2 shown]
	v_dual_dot2acc_f32_f16 v52, v89, v108 :: v_dual_dot2acc_f32_f16 v73, v90, v105
	v_dot2acc_f32_f16 v74, v90, v106
	v_dot2acc_f32_f16 v45, v90, v107
	;; [unrolled: 1-line block ×6, first 2 shown]
	v_dual_dot2acc_f32_f16 v44, v91, v108 :: v_dual_dot2acc_f32_f16 v59, v92, v105
	v_dot2acc_f32_f16 v60, v92, v106
	v_dot2acc_f32_f16 v33, v92, v107
	s_waitcnt lgkmcnt(1)
	v_dual_dot2acc_f32_f16 v35, v92, v108 :: v_dual_dot2acc_f32_f16 v84, v89, v97
	v_dot2acc_f32_f16 v83, v89, v98
	v_dot2acc_f32_f16 v49, v89, v99
	s_waitcnt lgkmcnt(0)
	v_dual_dot2acc_f32_f16 v63, v95, v98 :: v_dual_dot2acc_f32_f16 v50, v89, v100
	v_dot2acc_f32_f16 v67, v95, v97
	v_dual_dot2acc_f32_f16 v82, v90, v97 :: v_dual_dot2acc_f32_f16 v29, v96, v100
	v_dot2acc_f32_f16 v81, v90, v98
	v_dot2acc_f32_f16 v47, v90, v99
	;; [unrolled: 1-line block ×11, first 2 shown]
	v_dual_dot2acc_f32_f16 v26, v94, v108 :: v_dual_dot2acc_f32_f16 v55, v95, v105
	v_dot2acc_f32_f16 v30, v95, v107
	v_dual_dot2acc_f32_f16 v31, v95, v108 :: v_dual_dot2acc_f32_f16 v54, v96, v105
	v_dot2acc_f32_f16 v53, v96, v106
	v_dot2acc_f32_f16 v36, v96, v107
	ds_load_b128 v[101:104], v86 offset:20992
	v_dot2acc_f32_f16 v64, v93, v105
	v_dot2acc_f32_f16 v18, v93, v107
	v_dot2acc_f32_f16 v20, v93, v108
	v_dual_dot2acc_f32_f16 v56, v95, v106 :: v_dual_dot2acc_f32_f16 v37, v96, v108
	v_dot2acc_f32_f16 v71, v94, v98
	v_dot2acc_f32_f16 v27, v94, v99
	ds_load_b128 v[105:108], v86 offset:21248
	v_dot2acc_f32_f16 v48, v90, v100
	v_dot2acc_f32_f16 v42, v91, v99
	v_dot2acc_f32_f16 v70, v92, v97
	v_dot2acc_f32_f16 v40, v92, v100
	ds_load_b128 v[89:92], v85 offset:4608
	v_dot2acc_f32_f16 v78, v93, v97
	v_dot2acc_f32_f16 v76, v93, v98
	v_dot2acc_f32_f16 v22, v93, v99
	v_dot2acc_f32_f16 v24, v93, v100
	v_dot2acc_f32_f16 v72, v94, v97
	v_dot2acc_f32_f16 v28, v94, v100
	v_dot2acc_f32_f16 v32, v95, v99
	v_dot2acc_f32_f16 v34, v95, v100
	v_dot2acc_f32_f16 v58, v96, v97
	v_dot2acc_f32_f16 v62, v96, v98
	v_dot2acc_f32_f16 v38, v96, v99
	ds_load_b128 v[93:96], v85 offset:4864
	ds_load_b128 v[97:100], v86 offset:21504
	v_cndmask_b32_e64 v12, 0, v12, s7
	s_lshl_b32 s0, s15, 6
	v_add_nc_u32_e32 v17, s33, v87
	s_waitcnt lgkmcnt(2)
	v_dot2acc_f32_f16 v79, v89, v101
	v_dot2acc_f32_f16 v80, v89, v102
	;; [unrolled: 1-line block ×3, first 2 shown]
	v_dual_dot2acc_f32_f16 v52, v89, v104 :: v_dual_dot2acc_f32_f16 v73, v90, v101
	v_dot2acc_f32_f16 v74, v90, v102
	v_dot2acc_f32_f16 v45, v90, v103
	;; [unrolled: 1-line block ×6, first 2 shown]
	v_dual_dot2acc_f32_f16 v44, v91, v104 :: v_dual_dot2acc_f32_f16 v59, v92, v101
	v_dot2acc_f32_f16 v60, v92, v102
	v_dot2acc_f32_f16 v33, v92, v103
	v_dual_dot2acc_f32_f16 v35, v92, v104 :: v_dual_dot2acc_f32_f16 v84, v89, v105
	s_waitcnt lgkmcnt(1)
	v_dot2acc_f32_f16 v29, v96, v108
	v_dot2acc_f32_f16 v83, v89, v106
	;; [unrolled: 1-line block ×9, first 2 shown]
	v_dual_dot2acc_f32_f16 v39, v92, v107 :: v_dual_dot2acc_f32_f16 v64, v93, v101
	v_dot2acc_f32_f16 v65, v93, v102
	v_dot2acc_f32_f16 v18, v93, v103
	v_dual_dot2acc_f32_f16 v20, v93, v104 :: v_dual_dot2acc_f32_f16 v61, v94, v101
	v_dot2acc_f32_f16 v57, v94, v102
	v_dot2acc_f32_f16 v25, v94, v103
	;; [unrolled: 3-line block ×4, first 2 shown]
	v_dot2acc_f32_f16 v37, v96, v104
	v_dot2acc_f32_f16 v71, v94, v106
	;; [unrolled: 1-line block ×5, first 2 shown]
	ds_load_b128 v[101:104], v86 offset:21760
	v_dot2acc_f32_f16 v50, v89, v108
	v_dot2acc_f32_f16 v82, v90, v105
	;; [unrolled: 1-line block ×6, first 2 shown]
	ds_load_b128 v[89:92], v85 offset:5120
	v_dot2acc_f32_f16 v78, v93, v105
	v_dot2acc_f32_f16 v76, v93, v106
	;; [unrolled: 1-line block ×11, first 2 shown]
	ds_load_b128 v[93:96], v85 offset:5376
	ds_load_b128 v[105:108], v86 offset:22016
	v_cmp_gt_i32_e32 vcc_lo, s30, v17
	s_waitcnt lgkmcnt(2)
	v_dot2acc_f32_f16 v79, v89, v97
	v_dot2acc_f32_f16 v80, v89, v98
	;; [unrolled: 1-line block ×3, first 2 shown]
	v_dual_dot2acc_f32_f16 v52, v89, v100 :: v_dual_dot2acc_f32_f16 v73, v90, v97
	v_dot2acc_f32_f16 v74, v90, v98
	v_dot2acc_f32_f16 v45, v90, v99
	v_dot2acc_f32_f16 v46, v90, v100
	v_dot2acc_f32_f16 v66, v91, v97
	v_dot2acc_f32_f16 v68, v91, v98
	v_dot2acc_f32_f16 v41, v91, v99
	v_dual_dot2acc_f32_f16 v44, v91, v100 :: v_dual_dot2acc_f32_f16 v59, v92, v97
	v_dot2acc_f32_f16 v60, v92, v98
	v_dot2acc_f32_f16 v33, v92, v99
	;; [unrolled: 1-line block ×11, first 2 shown]
	s_waitcnt lgkmcnt(1)
	v_dual_dot2acc_f32_f16 v39, v92, v103 :: v_dual_dot2acc_f32_f16 v64, v93, v97
	v_dot2acc_f32_f16 v65, v93, v98
	v_dot2acc_f32_f16 v18, v93, v99
	v_dual_dot2acc_f32_f16 v20, v93, v100 :: v_dual_dot2acc_f32_f16 v61, v94, v97
	v_dot2acc_f32_f16 v57, v94, v98
	v_dot2acc_f32_f16 v25, v94, v99
	;; [unrolled: 3-line block ×4, first 2 shown]
	v_dot2acc_f32_f16 v37, v96, v100
	v_dot2acc_f32_f16 v71, v94, v102
	v_dot2acc_f32_f16 v27, v94, v103
	v_dot2acc_f32_f16 v67, v95, v101
	v_dot2acc_f32_f16 v63, v95, v102
	v_dot2acc_f32_f16 v62, v96, v102
	ds_load_b128 v[97:100], v86 offset:22272
	v_dot2acc_f32_f16 v84, v89, v101
	v_dot2acc_f32_f16 v50, v89, v104
	;; [unrolled: 1-line block ×7, first 2 shown]
	ds_load_b128 v[89:92], v85 offset:5632
	v_dot2acc_f32_f16 v78, v93, v101
	v_dot2acc_f32_f16 v76, v93, v102
	;; [unrolled: 1-line block ×11, first 2 shown]
	ds_load_b128 v[93:96], v85 offset:5888
	ds_load_b128 v[101:104], v86 offset:22528
	s_waitcnt lgkmcnt(2)
	v_dot2acc_f32_f16 v79, v89, v105
	v_dot2acc_f32_f16 v80, v89, v106
	;; [unrolled: 1-line block ×5, first 2 shown]
	v_dual_dot2acc_f32_f16 v45, v90, v107 :: v_dual_dot2acc_f32_f16 v52, v89, v108
	v_dual_dot2acc_f32_f16 v41, v91, v107 :: v_dual_dot2acc_f32_f16 v46, v90, v108
	;; [unrolled: 1-line block ×4, first 2 shown]
	v_dot2acc_f32_f16 v35, v92, v108
	v_dual_dot2acc_f32_f16 v83, v89, v98 :: v_dual_dot2acc_f32_f16 v44, v91, v108
	v_dual_dot2acc_f32_f16 v49, v89, v99 :: v_dual_dot2acc_f32_f16 v60, v92, v106
	v_dot2acc_f32_f16 v81, v90, v98
	v_dot2acc_f32_f16 v47, v90, v99
	;; [unrolled: 1-line block ×6, first 2 shown]
	s_waitcnt lgkmcnt(1)
	v_dual_dot2acc_f32_f16 v39, v92, v99 :: v_dual_dot2acc_f32_f16 v64, v93, v105
	v_dot2acc_f32_f16 v65, v93, v106
	v_dual_dot2acc_f32_f16 v20, v93, v108 :: v_dual_dot2acc_f32_f16 v61, v94, v105
	v_dual_dot2acc_f32_f16 v18, v93, v107 :: v_dual_dot2acc_f32_f16 v57, v94, v106
	v_dot2acc_f32_f16 v25, v94, v107
	v_dual_dot2acc_f32_f16 v55, v95, v105 :: v_dual_dot2acc_f32_f16 v26, v94, v108
	v_dot2acc_f32_f16 v56, v95, v106
	v_dot2acc_f32_f16 v30, v95, v107
	v_dual_dot2acc_f32_f16 v31, v95, v108 :: v_dual_dot2acc_f32_f16 v54, v96, v105
	v_dot2acc_f32_f16 v53, v96, v106
	;; [unrolled: 3-line block ×3, first 2 shown]
	v_dual_dot2acc_f32_f16 v67, v95, v97 :: v_dual_dot2acc_f32_f16 v28, v94, v100
	v_dot2acc_f32_f16 v63, v95, v98
	v_dot2acc_f32_f16 v34, v95, v100
	;; [unrolled: 1-line block ×4, first 2 shown]
	ds_load_b128 v[105:108], v86 offset:22784
	v_dot2acc_f32_f16 v84, v89, v97
	v_dot2acc_f32_f16 v50, v89, v100
	;; [unrolled: 1-line block ×7, first 2 shown]
	ds_load_b128 v[89:92], v85 offset:6144
	v_dot2acc_f32_f16 v78, v93, v97
	v_dot2acc_f32_f16 v76, v93, v98
	;; [unrolled: 1-line block ×6, first 2 shown]
	v_dual_dot2acc_f32_f16 v29, v96, v100 :: v_dual_dot2acc_f32_f16 v32, v95, v99
	ds_load_b128 v[93:96], v85 offset:6400
	ds_load_b128 v[97:100], v86 offset:23040
	s_waitcnt lgkmcnt(2)
	v_dot2acc_f32_f16 v79, v89, v101
	v_dot2acc_f32_f16 v51, v89, v103
	;; [unrolled: 1-line block ×4, first 2 shown]
	v_dual_dot2acc_f32_f16 v41, v91, v103 :: v_dual_dot2acc_f32_f16 v80, v89, v102
	v_dual_dot2acc_f32_f16 v59, v92, v101 :: v_dual_dot2acc_f32_f16 v52, v89, v104
	;; [unrolled: 1-line block ×4, first 2 shown]
	v_dot2acc_f32_f16 v83, v89, v106
	v_dual_dot2acc_f32_f16 v49, v89, v107 :: v_dual_dot2acc_f32_f16 v46, v90, v104
	v_dual_dot2acc_f32_f16 v81, v90, v106 :: v_dual_dot2acc_f32_f16 v44, v91, v104
	v_dual_dot2acc_f32_f16 v47, v90, v107 :: v_dual_dot2acc_f32_f16 v68, v91, v102
	v_dual_dot2acc_f32_f16 v77, v91, v105 :: v_dual_dot2acc_f32_f16 v60, v92, v102
	v_dot2acc_f32_f16 v75, v91, v106
	v_dot2acc_f32_f16 v43, v91, v108
	;; [unrolled: 1-line block ×4, first 2 shown]
	s_waitcnt lgkmcnt(1)
	v_dot2acc_f32_f16 v65, v93, v102
	v_dot2acc_f32_f16 v61, v94, v101
	;; [unrolled: 1-line block ×3, first 2 shown]
	v_dual_dot2acc_f32_f16 v25, v94, v103 :: v_dual_dot2acc_f32_f16 v64, v93, v101
	v_dual_dot2acc_f32_f16 v55, v95, v101 :: v_dual_dot2acc_f32_f16 v18, v93, v103
	;; [unrolled: 1-line block ×8, first 2 shown]
	v_dot2acc_f32_f16 v26, v94, v104
	v_dual_dot2acc_f32_f16 v22, v93, v107 :: v_dual_dot2acc_f32_f16 v63, v95, v106
	v_dot2acc_f32_f16 v36, v96, v103
	v_dot2acc_f32_f16 v72, v94, v105
	;; [unrolled: 1-line block ×5, first 2 shown]
	ds_load_b128 v[101:104], v86 offset:23296
	v_dot2acc_f32_f16 v84, v89, v105
	v_dot2acc_f32_f16 v50, v89, v108
	;; [unrolled: 1-line block ×7, first 2 shown]
	ds_load_b128 v[89:92], v85 offset:6656
	v_dot2acc_f32_f16 v78, v93, v105
	v_dot2acc_f32_f16 v38, v96, v107
	v_dual_dot2acc_f32_f16 v29, v96, v108 :: v_dual_dot2acc_f32_f16 v76, v93, v106
	v_dot2acc_f32_f16 v32, v95, v107
	ds_load_b128 v[93:96], v85 offset:6912
	ds_load_b128 v[105:108], v86 offset:23552
	s_waitcnt lgkmcnt(2)
	v_dot2acc_f32_f16 v79, v89, v97
	v_dot2acc_f32_f16 v51, v89, v99
	;; [unrolled: 1-line block ×7, first 2 shown]
	v_dual_dot2acc_f32_f16 v35, v92, v100 :: v_dual_dot2acc_f32_f16 v80, v89, v98
	v_dot2acc_f32_f16 v83, v89, v102
	v_dot2acc_f32_f16 v49, v89, v103
	v_dual_dot2acc_f32_f16 v81, v90, v102 :: v_dual_dot2acc_f32_f16 v52, v89, v100
	v_dual_dot2acc_f32_f16 v47, v90, v103 :: v_dual_dot2acc_f32_f16 v66, v91, v97
	;; [unrolled: 1-line block ×7, first 2 shown]
	s_waitcnt lgkmcnt(1)
	v_dot2acc_f32_f16 v65, v93, v98
	v_dot2acc_f32_f16 v61, v94, v97
	;; [unrolled: 1-line block ×5, first 2 shown]
	v_dual_dot2acc_f32_f16 v31, v95, v100 :: v_dual_dot2acc_f32_f16 v64, v93, v97
	v_dot2acc_f32_f16 v53, v96, v98
	v_dual_dot2acc_f32_f16 v37, v96, v100 :: v_dual_dot2acc_f32_f16 v18, v93, v99
	v_dot2acc_f32_f16 v22, v93, v103
	v_dot2acc_f32_f16 v24, v93, v104
	;; [unrolled: 1-line block ×3, first 2 shown]
	v_dual_dot2acc_f32_f16 v71, v94, v102 :: v_dual_dot2acc_f32_f16 v30, v95, v99
	v_dual_dot2acc_f32_f16 v27, v94, v103 :: v_dual_dot2acc_f32_f16 v20, v93, v100
	v_dot2acc_f32_f16 v78, v93, v101
	v_dual_dot2acc_f32_f16 v28, v94, v104 :: v_dual_dot2acc_f32_f16 v67, v95, v101
	v_dual_dot2acc_f32_f16 v26, v94, v100 :: v_dual_dot2acc_f32_f16 v63, v95, v102
	v_dot2acc_f32_f16 v54, v96, v97
	v_dot2acc_f32_f16 v36, v96, v99
	;; [unrolled: 1-line block ×7, first 2 shown]
	v_dual_dot2acc_f32_f16 v29, v96, v104 :: v_dual_dot2acc_f32_f16 v56, v95, v98
	v_dot2acc_f32_f16 v76, v93, v102
	ds_load_b128 v[97:100], v86 offset:23808
	v_dot2acc_f32_f16 v84, v89, v101
	v_dot2acc_f32_f16 v50, v89, v104
	;; [unrolled: 1-line block ×7, first 2 shown]
	ds_load_b128 v[89:92], v85 offset:7168
	ds_load_b128 v[93:96], v85 offset:7424
	;; [unrolled: 1-line block ×3, first 2 shown]
	s_waitcnt lgkmcnt(2)
	v_dot2acc_f32_f16 v79, v89, v105
	v_dot2acc_f32_f16 v51, v89, v107
	;; [unrolled: 1-line block ×13, first 2 shown]
	v_dual_dot2acc_f32_f16 v75, v91, v98 :: v_dual_dot2acc_f32_f16 v52, v89, v108
	v_dual_dot2acc_f32_f16 v43, v91, v100 :: v_dual_dot2acc_f32_f16 v80, v89, v106
	;; [unrolled: 1-line block ×4, first 2 shown]
	s_waitcnt lgkmcnt(1)
	v_dual_dot2acc_f32_f16 v65, v93, v106 :: v_dual_dot2acc_f32_f16 v66, v91, v105
	v_dual_dot2acc_f32_f16 v61, v94, v105 :: v_dual_dot2acc_f32_f16 v68, v91, v106
	;; [unrolled: 1-line block ×4, first 2 shown]
	v_dot2acc_f32_f16 v55, v95, v105
	v_dot2acc_f32_f16 v30, v95, v107
	;; [unrolled: 1-line block ×7, first 2 shown]
	v_dual_dot2acc_f32_f16 v27, v94, v99 :: v_dual_dot2acc_f32_f16 v20, v93, v108
	v_dual_dot2acc_f32_f16 v67, v95, v97 :: v_dual_dot2acc_f32_f16 v26, v94, v108
	;; [unrolled: 1-line block ×3, first 2 shown]
	v_dot2acc_f32_f16 v54, v96, v105
	v_dual_dot2acc_f32_f16 v29, v96, v100 :: v_dual_dot2acc_f32_f16 v18, v93, v107
	v_dot2acc_f32_f16 v56, v95, v106
	ds_load_b128 v[105:108], v86 offset:24320
	v_dot2acc_f32_f16 v84, v89, v97
	v_dot2acc_f32_f16 v50, v89, v100
	;; [unrolled: 1-line block ×7, first 2 shown]
	ds_load_b128 v[89:92], v85 offset:7680
	v_dot2acc_f32_f16 v78, v93, v97
	v_dot2acc_f32_f16 v76, v93, v98
	;; [unrolled: 1-line block ×11, first 2 shown]
	ds_load_b128 v[93:96], v85 offset:7936
	ds_store_2addr_stride64_b32 v0, v6, v4 offset0:32 offset1:34
	ds_store_2addr_stride64_b32 v0, v2, v1 offset0:36 offset1:38
	;; [unrolled: 1-line block ×8, first 2 shown]
	s_waitcnt lgkmcnt(0)
	s_barrier
	ds_load_b128 v[0:3], v85 offset:8192
	ds_load_b128 v[4:7], v86 offset:24576
	;; [unrolled: 1-line block ×4, first 2 shown]
	v_dual_dot2acc_f32_f16 v73, v90, v101 :: v_dual_add_nc_u32 v16, s31, v88
	v_dot2acc_f32_f16 v45, v90, v103
	v_dot2acc_f32_f16 v79, v89, v101
	;; [unrolled: 1-line block ×17, first 2 shown]
	v_dual_dot2acc_f32_f16 v80, v89, v102 :: v_dual_dot2acc_f32_f16 v61, v94, v101
	v_dot2acc_f32_f16 v74, v90, v102
	v_dot2acc_f32_f16 v57, v94, v102
	;; [unrolled: 1-line block ×3, first 2 shown]
	v_dual_dot2acc_f32_f16 v25, v94, v103 :: v_dual_dot2acc_f32_f16 v66, v91, v101
	v_dot2acc_f32_f16 v55, v95, v101
	v_dot2acc_f32_f16 v68, v91, v102
	v_dot2acc_f32_f16 v31, v95, v104
	v_dual_dot2acc_f32_f16 v52, v89, v104 :: v_dual_dot2acc_f32_f16 v53, v96, v102
	v_dot2acc_f32_f16 v60, v92, v102
	v_dual_dot2acc_f32_f16 v37, v96, v104 :: v_dual_dot2acc_f32_f16 v84, v89, v105
	v_dual_dot2acc_f32_f16 v71, v94, v106 :: v_dual_dot2acc_f32_f16 v44, v91, v104
	v_dot2acc_f32_f16 v27, v94, v107
	v_dot2acc_f32_f16 v82, v90, v105
	;; [unrolled: 1-line block ×4, first 2 shown]
	v_dual_dot2acc_f32_f16 v63, v95, v106 :: v_dual_dot2acc_f32_f16 v50, v89, v108
	v_dot2acc_f32_f16 v29, v96, v108
	v_dot2acc_f32_f16 v48, v90, v108
	s_waitcnt lgkmcnt(2)
	v_dot2acc_f32_f16 v73, v1, v4
	v_dual_dot2acc_f32_f16 v40, v92, v108 :: v_dual_dot2acc_f32_f16 v45, v1, v6
	v_dot2acc_f32_f16 v70, v92, v105
	v_dot2acc_f32_f16 v79, v0, v4
	v_dual_dot2acc_f32_f16 v51, v0, v6 :: v_dual_dot2acc_f32_f16 v66, v2, v4
	v_dot2acc_f32_f16 v68, v2, v5
	;; [unrolled: 3-line block ×3, first 2 shown]
	v_dot2acc_f32_f16 v33, v3, v6
	v_dot2acc_f32_f16 v35, v3, v7
	ds_load_b128 v[89:92], v86 offset:25088
	v_dot2acc_f32_f16 v80, v0, v5
	v_dot2acc_f32_f16 v52, v0, v7
	;; [unrolled: 1-line block ×4, first 2 shown]
	s_waitcnt lgkmcnt(2)
	v_dot2acc_f32_f16 v84, v0, v8
	v_dot2acc_f32_f16 v83, v0, v9
	;; [unrolled: 1-line block ×7, first 2 shown]
	v_dual_dot2acc_f32_f16 v48, v1, v11 :: v_dual_dot2acc_f32_f16 v77, v2, v8
	v_dot2acc_f32_f16 v75, v2, v9
	v_dot2acc_f32_f16 v42, v2, v10
	v_dual_dot2acc_f32_f16 v43, v2, v11 :: v_dual_dot2acc_f32_f16 v70, v3, v8
	v_dot2acc_f32_f16 v69, v3, v9
	v_dot2acc_f32_f16 v39, v3, v10
	;; [unrolled: 1-line block ×3, first 2 shown]
	ds_load_b128 v[0:3], v85 offset:8704
	v_dot2acc_f32_f16 v64, v93, v101
	v_dot2acc_f32_f16 v18, v93, v103
	;; [unrolled: 1-line block ×8, first 2 shown]
	s_waitcnt lgkmcnt(2)
	v_dot2acc_f32_f16 v65, v12, v5
	v_dot2acc_f32_f16 v61, v13, v4
	;; [unrolled: 1-line block ×10, first 2 shown]
	s_waitcnt lgkmcnt(0)
	v_dual_dot2acc_f32_f16 v32, v95, v107 :: v_dual_dot2acc_f32_f16 v79, v0, v89
	v_dot2acc_f32_f16 v51, v0, v91
	v_dot2acc_f32_f16 v41, v2, v91
	v_dual_dot2acc_f32_f16 v20, v12, v7 :: v_dual_dot2acc_f32_f16 v59, v3, v89
	v_dot2acc_f32_f16 v26, v13, v7
	v_dual_dot2acc_f32_f16 v33, v3, v91 :: v_dual_dot2acc_f32_f16 v64, v12, v4
	;; [unrolled: 2-line block ×3, first 2 shown]
	v_dot2acc_f32_f16 v36, v15, v6
	ds_load_b128 v[4:7], v86 offset:25344
	v_dot2acc_f32_f16 v78, v93, v105
	v_dot2acc_f32_f16 v76, v93, v106
	v_dot2acc_f32_f16 v22, v93, v107
	v_dot2acc_f32_f16 v24, v93, v108
	v_dot2acc_f32_f16 v72, v94, v105
	v_dot2acc_f32_f16 v28, v94, v108
	v_dot2acc_f32_f16 v34, v95, v108
	v_dot2acc_f32_f16 v58, v96, v105
	v_dot2acc_f32_f16 v62, v96, v106
	v_dot2acc_f32_f16 v38, v96, v107
	v_dot2acc_f32_f16 v78, v12, v8
	v_dot2acc_f32_f16 v76, v12, v9
	v_dot2acc_f32_f16 v22, v12, v10
	v_dot2acc_f32_f16 v24, v12, v11
	v_dot2acc_f32_f16 v72, v13, v8
	v_dot2acc_f32_f16 v71, v13, v9
	v_dot2acc_f32_f16 v27, v13, v10
	v_dual_dot2acc_f32_f16 v28, v13, v11 :: v_dual_dot2acc_f32_f16 v67, v14, v8
	v_dot2acc_f32_f16 v63, v14, v9
	v_dot2acc_f32_f16 v32, v14, v10
	;; [unrolled: 1-line block ×7, first 2 shown]
	ds_load_b128 v[8:11], v85 offset:8960
	v_dot2acc_f32_f16 v73, v1, v89
	v_dot2acc_f32_f16 v74, v1, v90
	;; [unrolled: 1-line block ×8, first 2 shown]
	ds_load_b128 v[12:15], v86 offset:25600
	v_dot2acc_f32_f16 v80, v0, v90
	v_dot2acc_f32_f16 v52, v0, v92
	s_waitcnt lgkmcnt(2)
	v_dot2acc_f32_f16 v84, v0, v4
	v_dot2acc_f32_f16 v83, v0, v5
	;; [unrolled: 1-line block ×7, first 2 shown]
	v_dual_dot2acc_f32_f16 v48, v1, v7 :: v_dual_dot2acc_f32_f16 v77, v2, v4
	v_dot2acc_f32_f16 v75, v2, v5
	v_dot2acc_f32_f16 v42, v2, v6
	v_dual_dot2acc_f32_f16 v43, v2, v7 :: v_dual_dot2acc_f32_f16 v70, v3, v4
	v_dot2acc_f32_f16 v69, v3, v5
	v_dot2acc_f32_f16 v39, v3, v6
	;; [unrolled: 1-line block ×3, first 2 shown]
	ds_load_b128 v[0:3], v85 offset:9216
	s_waitcnt lgkmcnt(2)
	v_dot2acc_f32_f16 v65, v8, v90
	v_dual_dot2acc_f32_f16 v20, v8, v92 :: v_dual_dot2acc_f32_f16 v61, v9, v89
	v_dot2acc_f32_f16 v57, v9, v90
	v_dot2acc_f32_f16 v25, v9, v91
	v_dual_dot2acc_f32_f16 v26, v9, v92 :: v_dual_dot2acc_f32_f16 v55, v10, v89
	v_dot2acc_f32_f16 v56, v10, v90
	v_dot2acc_f32_f16 v30, v10, v91
	v_dual_dot2acc_f32_f16 v31, v10, v92 :: v_dual_dot2acc_f32_f16 v54, v11, v89
	v_dot2acc_f32_f16 v53, v11, v90
	v_dot2acc_f32_f16 v36, v11, v91
	v_dot2acc_f32_f16 v37, v11, v92
	;; [unrolled: 1-line block ×9, first 2 shown]
	v_dual_dot2acc_f32_f16 v28, v9, v7 :: v_dual_dot2acc_f32_f16 v67, v10, v4
	v_dot2acc_f32_f16 v63, v10, v5
	v_dot2acc_f32_f16 v32, v10, v6
	;; [unrolled: 1-line block ×7, first 2 shown]
	ds_load_b128 v[4:7], v85 offset:9472
	s_waitcnt lgkmcnt(1)
	v_dual_dot2acc_f32_f16 v33, v3, v14 :: v_dual_dot2acc_f32_f16 v64, v8, v89
	v_dot2acc_f32_f16 v35, v3, v15
	v_dot2acc_f32_f16 v18, v8, v91
	ds_load_b128 v[89:92], v86 offset:25856
	ds_load_b128 v[8:11], v86 offset:26112
	v_dot2acc_f32_f16 v79, v0, v12
	v_dot2acc_f32_f16 v80, v0, v13
	;; [unrolled: 1-line block ×3, first 2 shown]
	v_dual_dot2acc_f32_f16 v52, v0, v15 :: v_dual_dot2acc_f32_f16 v73, v1, v12
	v_dot2acc_f32_f16 v74, v1, v13
	v_dot2acc_f32_f16 v45, v1, v14
	;; [unrolled: 1-line block ×6, first 2 shown]
	v_dual_dot2acc_f32_f16 v44, v2, v15 :: v_dual_dot2acc_f32_f16 v59, v3, v12
	v_dot2acc_f32_f16 v60, v3, v13
	ds_load_b128 v[93:96], v85 offset:13568
	v_mul_lo_u32 v19, v16, s14
	s_waitcnt lgkmcnt(2)
	v_dot2acc_f32_f16 v84, v0, v89
	v_dot2acc_f32_f16 v83, v0, v90
	v_dot2acc_f32_f16 v49, v0, v91
	v_dot2acc_f32_f16 v50, v0, v92
	v_dot2acc_f32_f16 v82, v1, v89
	v_dot2acc_f32_f16 v81, v1, v90
	v_dot2acc_f32_f16 v47, v1, v91
	v_dual_dot2acc_f32_f16 v48, v1, v92 :: v_dual_dot2acc_f32_f16 v77, v2, v89
	v_dot2acc_f32_f16 v75, v2, v90
	v_dot2acc_f32_f16 v42, v2, v91
	v_dual_dot2acc_f32_f16 v43, v2, v92 :: v_dual_dot2acc_f32_f16 v70, v3, v89
	v_dot2acc_f32_f16 v69, v3, v90
	v_dot2acc_f32_f16 v39, v3, v91
	;; [unrolled: 1-line block ×3, first 2 shown]
	ds_load_b128 v[0:3], v85 offset:9728
	v_dot2acc_f32_f16 v64, v4, v12
	v_dot2acc_f32_f16 v65, v4, v13
	v_dot2acc_f32_f16 v18, v4, v14
	v_dual_dot2acc_f32_f16 v20, v4, v15 :: v_dual_dot2acc_f32_f16 v61, v5, v12
	v_dot2acc_f32_f16 v57, v5, v13
	v_dot2acc_f32_f16 v25, v5, v14
	v_dual_dot2acc_f32_f16 v26, v5, v15 :: v_dual_dot2acc_f32_f16 v55, v6, v12
	v_dot2acc_f32_f16 v56, v6, v13
	v_dot2acc_f32_f16 v30, v6, v14
	;; [unrolled: 3-line block ×4, first 2 shown]
	v_dot2acc_f32_f16 v24, v4, v92
	v_dot2acc_f32_f16 v72, v5, v89
	;; [unrolled: 1-line block ×4, first 2 shown]
	v_dual_dot2acc_f32_f16 v28, v5, v92 :: v_dual_dot2acc_f32_f16 v67, v6, v89
	v_dot2acc_f32_f16 v63, v6, v90
	v_dot2acc_f32_f16 v32, v6, v91
	;; [unrolled: 1-line block ×5, first 2 shown]
	ds_load_b128 v[12:15], v86 offset:26368
	v_dot2acc_f32_f16 v38, v7, v91
	v_dot2acc_f32_f16 v29, v7, v92
	ds_load_b128 v[4:7], v85 offset:9984
	s_waitcnt lgkmcnt(2)
	v_dot2acc_f32_f16 v79, v0, v8
	v_dot2acc_f32_f16 v80, v0, v9
	;; [unrolled: 1-line block ×3, first 2 shown]
	v_dual_dot2acc_f32_f16 v52, v0, v11 :: v_dual_dot2acc_f32_f16 v73, v1, v8
	v_dot2acc_f32_f16 v74, v1, v9
	v_dot2acc_f32_f16 v45, v1, v10
	;; [unrolled: 1-line block ×6, first 2 shown]
	v_dual_dot2acc_f32_f16 v44, v2, v11 :: v_dual_dot2acc_f32_f16 v59, v3, v8
	v_dot2acc_f32_f16 v60, v3, v9
	v_dot2acc_f32_f16 v33, v3, v10
	;; [unrolled: 1-line block ×3, first 2 shown]
	ds_load_b128 v[89:92], v86 offset:26624
	s_waitcnt lgkmcnt(2)
	v_dot2acc_f32_f16 v84, v0, v12
	v_dot2acc_f32_f16 v83, v0, v13
	;; [unrolled: 1-line block ×7, first 2 shown]
	v_dual_dot2acc_f32_f16 v48, v1, v15 :: v_dual_dot2acc_f32_f16 v77, v2, v12
	v_dot2acc_f32_f16 v75, v2, v13
	v_dot2acc_f32_f16 v42, v2, v14
	v_dual_dot2acc_f32_f16 v43, v2, v15 :: v_dual_dot2acc_f32_f16 v70, v3, v12
	v_dot2acc_f32_f16 v69, v3, v13
	v_dot2acc_f32_f16 v39, v3, v14
	;; [unrolled: 1-line block ×3, first 2 shown]
	ds_load_b128 v[0:3], v85 offset:10240
	s_waitcnt lgkmcnt(2)
	v_dot2acc_f32_f16 v64, v4, v8
	v_dot2acc_f32_f16 v65, v4, v9
	;; [unrolled: 1-line block ×3, first 2 shown]
	v_dual_dot2acc_f32_f16 v20, v4, v11 :: v_dual_dot2acc_f32_f16 v61, v5, v8
	v_dot2acc_f32_f16 v57, v5, v9
	v_dot2acc_f32_f16 v25, v5, v10
	v_dual_dot2acc_f32_f16 v26, v5, v11 :: v_dual_dot2acc_f32_f16 v55, v6, v8
	v_dot2acc_f32_f16 v56, v6, v9
	v_dot2acc_f32_f16 v30, v6, v10
	;; [unrolled: 3-line block ×4, first 2 shown]
	v_dot2acc_f32_f16 v24, v4, v15
	v_dot2acc_f32_f16 v72, v5, v12
	v_dot2acc_f32_f16 v71, v5, v13
	v_dot2acc_f32_f16 v27, v5, v14
	v_dual_dot2acc_f32_f16 v28, v5, v15 :: v_dual_dot2acc_f32_f16 v67, v6, v12
	v_dot2acc_f32_f16 v63, v6, v13
	v_dot2acc_f32_f16 v32, v6, v14
	;; [unrolled: 1-line block ×5, first 2 shown]
	ds_load_b128 v[8:11], v86 offset:26880
	v_dot2acc_f32_f16 v38, v7, v14
	v_dot2acc_f32_f16 v29, v7, v15
	ds_load_b128 v[4:7], v85 offset:10496
	s_waitcnt lgkmcnt(2)
	v_dot2acc_f32_f16 v79, v0, v89
	v_dot2acc_f32_f16 v80, v0, v90
	;; [unrolled: 1-line block ×3, first 2 shown]
	v_dual_dot2acc_f32_f16 v52, v0, v92 :: v_dual_dot2acc_f32_f16 v73, v1, v89
	v_dot2acc_f32_f16 v74, v1, v90
	v_dot2acc_f32_f16 v45, v1, v91
	;; [unrolled: 1-line block ×6, first 2 shown]
	v_dual_dot2acc_f32_f16 v44, v2, v92 :: v_dual_dot2acc_f32_f16 v59, v3, v89
	v_dot2acc_f32_f16 v60, v3, v90
	v_dot2acc_f32_f16 v33, v3, v91
	;; [unrolled: 1-line block ×3, first 2 shown]
	ds_load_b128 v[12:15], v86 offset:27136
	s_waitcnt lgkmcnt(2)
	v_dot2acc_f32_f16 v84, v0, v8
	v_dot2acc_f32_f16 v83, v0, v9
	;; [unrolled: 1-line block ×7, first 2 shown]
	v_dual_dot2acc_f32_f16 v48, v1, v11 :: v_dual_dot2acc_f32_f16 v77, v2, v8
	v_dot2acc_f32_f16 v75, v2, v9
	v_dot2acc_f32_f16 v42, v2, v10
	v_dual_dot2acc_f32_f16 v43, v2, v11 :: v_dual_dot2acc_f32_f16 v70, v3, v8
	v_dot2acc_f32_f16 v69, v3, v9
	v_dot2acc_f32_f16 v39, v3, v10
	;; [unrolled: 1-line block ×3, first 2 shown]
	ds_load_b128 v[0:3], v85 offset:10752
	s_waitcnt lgkmcnt(2)
	v_dot2acc_f32_f16 v64, v4, v89
	v_dot2acc_f32_f16 v65, v4, v90
	;; [unrolled: 1-line block ×3, first 2 shown]
	v_dual_dot2acc_f32_f16 v20, v4, v92 :: v_dual_dot2acc_f32_f16 v61, v5, v89
	v_dot2acc_f32_f16 v57, v5, v90
	v_dot2acc_f32_f16 v25, v5, v91
	v_dual_dot2acc_f32_f16 v26, v5, v92 :: v_dual_dot2acc_f32_f16 v55, v6, v89
	v_dot2acc_f32_f16 v56, v6, v90
	v_dot2acc_f32_f16 v30, v6, v91
	;; [unrolled: 3-line block ×3, first 2 shown]
	v_dot2acc_f32_f16 v37, v7, v92
	v_dot2acc_f32_f16 v78, v4, v8
	;; [unrolled: 1-line block ×8, first 2 shown]
	v_dual_dot2acc_f32_f16 v28, v5, v11 :: v_dual_dot2acc_f32_f16 v67, v6, v8
	v_dot2acc_f32_f16 v63, v6, v9
	v_dot2acc_f32_f16 v32, v6, v10
	;; [unrolled: 1-line block ×5, first 2 shown]
	ds_load_b128 v[89:92], v86 offset:27392
	v_dot2acc_f32_f16 v38, v7, v10
	v_dot2acc_f32_f16 v29, v7, v11
	ds_load_b128 v[4:7], v85 offset:11008
	s_waitcnt lgkmcnt(2)
	v_dot2acc_f32_f16 v79, v0, v12
	v_dot2acc_f32_f16 v80, v0, v13
	v_dot2acc_f32_f16 v51, v0, v14
	v_dual_dot2acc_f32_f16 v52, v0, v15 :: v_dual_dot2acc_f32_f16 v73, v1, v12
	v_dot2acc_f32_f16 v74, v1, v13
	v_dot2acc_f32_f16 v45, v1, v14
	;; [unrolled: 1-line block ×6, first 2 shown]
	v_dual_dot2acc_f32_f16 v44, v2, v15 :: v_dual_dot2acc_f32_f16 v59, v3, v12
	v_dot2acc_f32_f16 v60, v3, v13
	v_dot2acc_f32_f16 v33, v3, v14
	;; [unrolled: 1-line block ×3, first 2 shown]
	ds_load_b128 v[8:11], v86 offset:27648
	s_waitcnt lgkmcnt(2)
	v_dot2acc_f32_f16 v84, v0, v89
	v_dot2acc_f32_f16 v83, v0, v90
	v_dot2acc_f32_f16 v49, v0, v91
	v_dot2acc_f32_f16 v50, v0, v92
	v_dot2acc_f32_f16 v82, v1, v89
	v_dot2acc_f32_f16 v81, v1, v90
	v_dot2acc_f32_f16 v47, v1, v91
	v_dual_dot2acc_f32_f16 v48, v1, v92 :: v_dual_dot2acc_f32_f16 v77, v2, v89
	v_dot2acc_f32_f16 v75, v2, v90
	v_dot2acc_f32_f16 v42, v2, v91
	v_dual_dot2acc_f32_f16 v43, v2, v92 :: v_dual_dot2acc_f32_f16 v70, v3, v89
	v_dot2acc_f32_f16 v69, v3, v90
	v_dot2acc_f32_f16 v39, v3, v91
	;; [unrolled: 1-line block ×3, first 2 shown]
	ds_load_b128 v[0:3], v85 offset:11264
	s_waitcnt lgkmcnt(2)
	v_dot2acc_f32_f16 v64, v4, v12
	v_dot2acc_f32_f16 v65, v4, v13
	;; [unrolled: 1-line block ×3, first 2 shown]
	v_dual_dot2acc_f32_f16 v20, v4, v15 :: v_dual_dot2acc_f32_f16 v61, v5, v12
	v_dot2acc_f32_f16 v57, v5, v13
	v_dot2acc_f32_f16 v25, v5, v14
	v_dual_dot2acc_f32_f16 v26, v5, v15 :: v_dual_dot2acc_f32_f16 v55, v6, v12
	v_dot2acc_f32_f16 v56, v6, v13
	v_dot2acc_f32_f16 v30, v6, v14
	;; [unrolled: 3-line block ×4, first 2 shown]
	v_dot2acc_f32_f16 v24, v4, v92
	v_dot2acc_f32_f16 v72, v5, v89
	;; [unrolled: 1-line block ×4, first 2 shown]
	v_dual_dot2acc_f32_f16 v28, v5, v92 :: v_dual_dot2acc_f32_f16 v67, v6, v89
	v_dot2acc_f32_f16 v63, v6, v90
	v_dot2acc_f32_f16 v32, v6, v91
	;; [unrolled: 1-line block ×5, first 2 shown]
	ds_load_b128 v[12:15], v86 offset:27904
	v_dot2acc_f32_f16 v38, v7, v91
	v_dot2acc_f32_f16 v29, v7, v92
	ds_load_b128 v[4:7], v85 offset:11520
	s_waitcnt lgkmcnt(2)
	v_dot2acc_f32_f16 v79, v0, v8
	v_dot2acc_f32_f16 v80, v0, v9
	;; [unrolled: 1-line block ×3, first 2 shown]
	v_dual_dot2acc_f32_f16 v52, v0, v11 :: v_dual_dot2acc_f32_f16 v73, v1, v8
	v_dot2acc_f32_f16 v74, v1, v9
	v_dot2acc_f32_f16 v45, v1, v10
	;; [unrolled: 1-line block ×6, first 2 shown]
	v_dual_dot2acc_f32_f16 v44, v2, v11 :: v_dual_dot2acc_f32_f16 v59, v3, v8
	v_dot2acc_f32_f16 v60, v3, v9
	v_dot2acc_f32_f16 v33, v3, v10
	;; [unrolled: 1-line block ×3, first 2 shown]
	ds_load_b128 v[89:92], v86 offset:28160
	s_waitcnt lgkmcnt(2)
	v_dot2acc_f32_f16 v84, v0, v12
	v_dot2acc_f32_f16 v83, v0, v13
	;; [unrolled: 1-line block ×7, first 2 shown]
	v_dual_dot2acc_f32_f16 v48, v1, v15 :: v_dual_dot2acc_f32_f16 v77, v2, v12
	v_dot2acc_f32_f16 v75, v2, v13
	v_dot2acc_f32_f16 v42, v2, v14
	v_dual_dot2acc_f32_f16 v43, v2, v15 :: v_dual_dot2acc_f32_f16 v70, v3, v12
	v_dot2acc_f32_f16 v69, v3, v13
	v_dot2acc_f32_f16 v39, v3, v14
	;; [unrolled: 1-line block ×3, first 2 shown]
	ds_load_b128 v[0:3], v85 offset:11776
	s_waitcnt lgkmcnt(2)
	v_dot2acc_f32_f16 v64, v4, v8
	v_dot2acc_f32_f16 v65, v4, v9
	;; [unrolled: 1-line block ×3, first 2 shown]
	v_dual_dot2acc_f32_f16 v20, v4, v11 :: v_dual_dot2acc_f32_f16 v61, v5, v8
	v_dot2acc_f32_f16 v57, v5, v9
	v_dot2acc_f32_f16 v25, v5, v10
	v_dual_dot2acc_f32_f16 v26, v5, v11 :: v_dual_dot2acc_f32_f16 v55, v6, v8
	v_dot2acc_f32_f16 v56, v6, v9
	v_dot2acc_f32_f16 v30, v6, v10
	;; [unrolled: 3-line block ×4, first 2 shown]
	v_dot2acc_f32_f16 v24, v4, v15
	v_dot2acc_f32_f16 v72, v5, v12
	;; [unrolled: 1-line block ×4, first 2 shown]
	v_dual_dot2acc_f32_f16 v28, v5, v15 :: v_dual_dot2acc_f32_f16 v67, v6, v12
	v_dot2acc_f32_f16 v63, v6, v13
	v_dot2acc_f32_f16 v32, v6, v14
	;; [unrolled: 1-line block ×5, first 2 shown]
	ds_load_b128 v[8:11], v86 offset:28416
	v_dot2acc_f32_f16 v38, v7, v14
	v_dot2acc_f32_f16 v29, v7, v15
	ds_load_b128 v[4:7], v85 offset:12032
	s_waitcnt lgkmcnt(2)
	v_dot2acc_f32_f16 v79, v0, v89
	v_dot2acc_f32_f16 v80, v0, v90
	;; [unrolled: 1-line block ×3, first 2 shown]
	v_dual_dot2acc_f32_f16 v52, v0, v92 :: v_dual_dot2acc_f32_f16 v73, v1, v89
	v_dot2acc_f32_f16 v74, v1, v90
	v_dot2acc_f32_f16 v45, v1, v91
	;; [unrolled: 1-line block ×6, first 2 shown]
	v_dual_dot2acc_f32_f16 v44, v2, v92 :: v_dual_dot2acc_f32_f16 v59, v3, v89
	v_dot2acc_f32_f16 v60, v3, v90
	v_dot2acc_f32_f16 v33, v3, v91
	;; [unrolled: 1-line block ×3, first 2 shown]
	ds_load_b128 v[12:15], v86 offset:28672
	s_waitcnt lgkmcnt(2)
	v_dot2acc_f32_f16 v84, v0, v8
	v_dot2acc_f32_f16 v83, v0, v9
	;; [unrolled: 1-line block ×7, first 2 shown]
	v_dual_dot2acc_f32_f16 v48, v1, v11 :: v_dual_dot2acc_f32_f16 v77, v2, v8
	v_dot2acc_f32_f16 v75, v2, v9
	v_dot2acc_f32_f16 v42, v2, v10
	v_dual_dot2acc_f32_f16 v43, v2, v11 :: v_dual_dot2acc_f32_f16 v70, v3, v8
	v_dot2acc_f32_f16 v69, v3, v9
	v_dot2acc_f32_f16 v39, v3, v10
	;; [unrolled: 1-line block ×3, first 2 shown]
	ds_load_b128 v[0:3], v85 offset:12288
	s_waitcnt lgkmcnt(2)
	v_dot2acc_f32_f16 v64, v4, v89
	v_dot2acc_f32_f16 v65, v4, v90
	;; [unrolled: 1-line block ×3, first 2 shown]
	v_dual_dot2acc_f32_f16 v20, v4, v92 :: v_dual_dot2acc_f32_f16 v61, v5, v89
	v_dot2acc_f32_f16 v57, v5, v90
	v_dot2acc_f32_f16 v25, v5, v91
	v_dual_dot2acc_f32_f16 v26, v5, v92 :: v_dual_dot2acc_f32_f16 v55, v6, v89
	v_dot2acc_f32_f16 v56, v6, v90
	v_dot2acc_f32_f16 v30, v6, v91
	;; [unrolled: 3-line block ×3, first 2 shown]
	v_dot2acc_f32_f16 v37, v7, v92
	v_dot2acc_f32_f16 v78, v4, v8
	v_dot2acc_f32_f16 v76, v4, v9
	v_dot2acc_f32_f16 v22, v4, v10
	v_dot2acc_f32_f16 v24, v4, v11
	v_dot2acc_f32_f16 v72, v5, v8
	v_dot2acc_f32_f16 v71, v5, v9
	v_dot2acc_f32_f16 v27, v5, v10
	v_dual_dot2acc_f32_f16 v28, v5, v11 :: v_dual_dot2acc_f32_f16 v67, v6, v8
	v_dot2acc_f32_f16 v63, v6, v9
	v_dot2acc_f32_f16 v32, v6, v10
	;; [unrolled: 1-line block ×5, first 2 shown]
	ds_load_b128 v[89:92], v86 offset:28928
	v_dot2acc_f32_f16 v38, v7, v10
	v_dot2acc_f32_f16 v29, v7, v11
	ds_load_b128 v[4:7], v85 offset:12544
	s_waitcnt lgkmcnt(2)
	v_dot2acc_f32_f16 v79, v0, v12
	v_dot2acc_f32_f16 v80, v0, v13
	v_dot2acc_f32_f16 v51, v0, v14
	v_dual_dot2acc_f32_f16 v52, v0, v15 :: v_dual_dot2acc_f32_f16 v73, v1, v12
	v_dot2acc_f32_f16 v74, v1, v13
	v_dot2acc_f32_f16 v45, v1, v14
	;; [unrolled: 1-line block ×6, first 2 shown]
	v_dual_dot2acc_f32_f16 v44, v2, v15 :: v_dual_dot2acc_f32_f16 v59, v3, v12
	v_dot2acc_f32_f16 v60, v3, v13
	v_dot2acc_f32_f16 v33, v3, v14
	;; [unrolled: 1-line block ×3, first 2 shown]
	ds_load_b128 v[8:11], v86 offset:29184
	s_waitcnt lgkmcnt(2)
	v_dot2acc_f32_f16 v84, v0, v89
	v_dot2acc_f32_f16 v83, v0, v90
	;; [unrolled: 1-line block ×7, first 2 shown]
	v_dual_dot2acc_f32_f16 v48, v1, v92 :: v_dual_dot2acc_f32_f16 v77, v2, v89
	v_dot2acc_f32_f16 v75, v2, v90
	v_dot2acc_f32_f16 v42, v2, v91
	v_dual_dot2acc_f32_f16 v43, v2, v92 :: v_dual_dot2acc_f32_f16 v70, v3, v89
	v_dot2acc_f32_f16 v69, v3, v90
	v_dot2acc_f32_f16 v39, v3, v91
	;; [unrolled: 1-line block ×3, first 2 shown]
	ds_load_b128 v[0:3], v85 offset:12800
	s_waitcnt lgkmcnt(2)
	v_dot2acc_f32_f16 v64, v4, v12
	v_dot2acc_f32_f16 v65, v4, v13
	;; [unrolled: 1-line block ×3, first 2 shown]
	v_dual_dot2acc_f32_f16 v20, v4, v15 :: v_dual_dot2acc_f32_f16 v61, v5, v12
	v_dot2acc_f32_f16 v57, v5, v13
	v_dot2acc_f32_f16 v25, v5, v14
	v_dual_dot2acc_f32_f16 v26, v5, v15 :: v_dual_dot2acc_f32_f16 v55, v6, v12
	v_dot2acc_f32_f16 v56, v6, v13
	v_dot2acc_f32_f16 v30, v6, v14
	;; [unrolled: 3-line block ×4, first 2 shown]
	v_dot2acc_f32_f16 v24, v4, v92
	v_dot2acc_f32_f16 v72, v5, v89
	;; [unrolled: 1-line block ×4, first 2 shown]
	v_dual_dot2acc_f32_f16 v28, v5, v92 :: v_dual_dot2acc_f32_f16 v67, v6, v89
	v_dot2acc_f32_f16 v63, v6, v90
	v_dot2acc_f32_f16 v32, v6, v91
	;; [unrolled: 1-line block ×5, first 2 shown]
	ds_load_b128 v[12:15], v86 offset:29440
	v_dot2acc_f32_f16 v38, v7, v91
	v_dot2acc_f32_f16 v29, v7, v92
	ds_load_b128 v[4:7], v85 offset:13056
	s_waitcnt lgkmcnt(2)
	v_dot2acc_f32_f16 v79, v0, v8
	v_dot2acc_f32_f16 v80, v0, v9
	;; [unrolled: 1-line block ×3, first 2 shown]
	v_dual_dot2acc_f32_f16 v52, v0, v11 :: v_dual_dot2acc_f32_f16 v73, v1, v8
	v_dot2acc_f32_f16 v74, v1, v9
	v_dot2acc_f32_f16 v45, v1, v10
	;; [unrolled: 1-line block ×6, first 2 shown]
	v_dual_dot2acc_f32_f16 v44, v2, v11 :: v_dual_dot2acc_f32_f16 v59, v3, v8
	v_dot2acc_f32_f16 v60, v3, v9
	v_dot2acc_f32_f16 v33, v3, v10
	;; [unrolled: 1-line block ×3, first 2 shown]
	ds_load_b128 v[89:92], v86 offset:29696
	s_waitcnt lgkmcnt(2)
	v_dot2acc_f32_f16 v84, v0, v12
	v_dot2acc_f32_f16 v83, v0, v13
	v_dot2acc_f32_f16 v49, v0, v14
	v_dot2acc_f32_f16 v50, v0, v15
	v_dot2acc_f32_f16 v82, v1, v12
	v_dot2acc_f32_f16 v81, v1, v13
	v_dot2acc_f32_f16 v47, v1, v14
	v_dual_dot2acc_f32_f16 v48, v1, v15 :: v_dual_dot2acc_f32_f16 v77, v2, v12
	v_dot2acc_f32_f16 v75, v2, v13
	v_dot2acc_f32_f16 v42, v2, v14
	v_dual_dot2acc_f32_f16 v43, v2, v15 :: v_dual_dot2acc_f32_f16 v70, v3, v12
	v_dot2acc_f32_f16 v69, v3, v13
	v_dot2acc_f32_f16 v39, v3, v14
	;; [unrolled: 1-line block ×3, first 2 shown]
	ds_load_b128 v[0:3], v85 offset:13312
	s_waitcnt lgkmcnt(2)
	v_dot2acc_f32_f16 v64, v4, v8
	v_dot2acc_f32_f16 v65, v4, v9
	;; [unrolled: 1-line block ×3, first 2 shown]
	v_dual_dot2acc_f32_f16 v20, v4, v11 :: v_dual_dot2acc_f32_f16 v61, v5, v8
	v_dot2acc_f32_f16 v57, v5, v9
	v_dot2acc_f32_f16 v25, v5, v10
	v_dual_dot2acc_f32_f16 v26, v5, v11 :: v_dual_dot2acc_f32_f16 v55, v6, v8
	v_dot2acc_f32_f16 v56, v6, v9
	v_dot2acc_f32_f16 v30, v6, v10
	;; [unrolled: 3-line block ×3, first 2 shown]
	v_dot2acc_f32_f16 v37, v7, v11
	ds_load_b128 v[8:11], v86 offset:29952
	v_dot2acc_f32_f16 v78, v4, v12
	v_dot2acc_f32_f16 v76, v4, v13
	;; [unrolled: 1-line block ×7, first 2 shown]
	v_dual_dot2acc_f32_f16 v28, v5, v15 :: v_dual_dot2acc_f32_f16 v67, v6, v12
	v_dot2acc_f32_f16 v63, v6, v13
	v_dot2acc_f32_f16 v32, v6, v14
	;; [unrolled: 1-line block ×7, first 2 shown]
	s_waitcnt lgkmcnt(1)
	v_dot2acc_f32_f16 v79, v0, v89
	v_dot2acc_f32_f16 v80, v0, v90
	;; [unrolled: 1-line block ×3, first 2 shown]
	v_dual_dot2acc_f32_f16 v52, v0, v92 :: v_dual_dot2acc_f32_f16 v73, v1, v89
	v_dot2acc_f32_f16 v74, v1, v90
	v_dot2acc_f32_f16 v45, v1, v91
	;; [unrolled: 1-line block ×6, first 2 shown]
	v_dual_dot2acc_f32_f16 v44, v2, v92 :: v_dual_dot2acc_f32_f16 v59, v3, v89
	v_dot2acc_f32_f16 v60, v3, v90
	v_dot2acc_f32_f16 v33, v3, v91
	;; [unrolled: 1-line block ×3, first 2 shown]
	ds_load_b128 v[12:15], v86 offset:30208
	s_waitcnt lgkmcnt(1)
	v_dot2acc_f32_f16 v84, v0, v8
	v_dot2acc_f32_f16 v83, v0, v9
	;; [unrolled: 1-line block ×7, first 2 shown]
	v_dual_dot2acc_f32_f16 v48, v1, v11 :: v_dual_dot2acc_f32_f16 v77, v2, v8
	v_dot2acc_f32_f16 v75, v2, v9
	v_dot2acc_f32_f16 v42, v2, v10
	v_dual_dot2acc_f32_f16 v43, v2, v11 :: v_dual_dot2acc_f32_f16 v70, v3, v8
	v_dot2acc_f32_f16 v69, v3, v9
	v_dot2acc_f32_f16 v39, v3, v10
	;; [unrolled: 1-line block ×3, first 2 shown]
	ds_load_b128 v[0:3], v85 offset:13824
	v_dot2acc_f32_f16 v78, v93, v8
	v_dot2acc_f32_f16 v76, v93, v9
	;; [unrolled: 1-line block ×7, first 2 shown]
	v_dual_dot2acc_f32_f16 v28, v94, v11 :: v_dual_dot2acc_f32_f16 v67, v95, v8
	v_dot2acc_f32_f16 v63, v95, v9
	v_dot2acc_f32_f16 v32, v95, v10
	;; [unrolled: 1-line block ×5, first 2 shown]
	ds_load_b128 v[4:7], v86 offset:30464
	v_dot2acc_f32_f16 v38, v96, v10
	v_dot2acc_f32_f16 v29, v96, v11
	ds_load_b128 v[8:11], v85 offset:14080
	v_dot2acc_f32_f16 v20, v93, v92
	s_waitcnt lgkmcnt(2)
	v_dot2acc_f32_f16 v79, v0, v12
	v_dot2acc_f32_f16 v80, v0, v13
	;; [unrolled: 1-line block ×3, first 2 shown]
	v_dual_dot2acc_f32_f16 v52, v0, v15 :: v_dual_dot2acc_f32_f16 v73, v1, v12
	v_dot2acc_f32_f16 v74, v1, v13
	v_dot2acc_f32_f16 v45, v1, v14
	;; [unrolled: 1-line block ×6, first 2 shown]
	v_dual_dot2acc_f32_f16 v44, v2, v15 :: v_dual_dot2acc_f32_f16 v59, v3, v12
	v_dot2acc_f32_f16 v60, v3, v13
	v_dot2acc_f32_f16 v33, v3, v14
	s_waitcnt lgkmcnt(1)
	v_dual_dot2acc_f32_f16 v35, v3, v15 :: v_dual_dot2acc_f32_f16 v84, v0, v4
	v_dot2acc_f32_f16 v83, v0, v5
	v_dot2acc_f32_f16 v49, v0, v6
	v_dot2acc_f32_f16 v50, v0, v7
	v_dot2acc_f32_f16 v82, v1, v4
	v_dot2acc_f32_f16 v81, v1, v5
	v_dot2acc_f32_f16 v47, v1, v6
	v_dual_dot2acc_f32_f16 v48, v1, v7 :: v_dual_dot2acc_f32_f16 v77, v2, v4
	v_dot2acc_f32_f16 v75, v2, v5
	v_dot2acc_f32_f16 v42, v2, v6
	v_dual_dot2acc_f32_f16 v43, v2, v7 :: v_dual_dot2acc_f32_f16 v70, v3, v4
	v_dot2acc_f32_f16 v69, v3, v5
	v_dot2acc_f32_f16 v39, v3, v6
	;; [unrolled: 1-line block ×3, first 2 shown]
	ds_load_b128 v[0:3], v85 offset:14336
	s_waitcnt lgkmcnt(1)
	v_dot2acc_f32_f16 v20, v8, v15
	v_dot2acc_f32_f16 v64, v93, v89
	;; [unrolled: 1-line block ×5, first 2 shown]
	v_mad_u64_u32 v[87:88], null, v17, s15, v[19:20]
	v_dot2acc_f32_f16 v64, v8, v12
	v_dot2acc_f32_f16 v65, v8, v13
	;; [unrolled: 1-line block ×6, first 2 shown]
	v_lshlrev_b32_e32 v8, 1, v87
	v_dot2acc_f32_f16 v25, v94, v91
	v_dot2acc_f32_f16 v26, v94, v92
	;; [unrolled: 1-line block ×3, first 2 shown]
	v_dual_dot2acc_f32_f16 v31, v95, v92 :: v_dual_dot2acc_f32_f16 v36, v96, v91
	v_dot2acc_f32_f16 v37, v96, v92
	buffer_load_b64 v[91:92], v8, s[36:39], 0 offen
	v_add_lshl_u32 v8, v87, s0, 1
	v_dot2acc_f32_f16 v61, v94, v89
	v_dot2acc_f32_f16 v57, v94, v90
	;; [unrolled: 1-line block ×6, first 2 shown]
	buffer_load_b64 v[93:94], v8, s[36:39], 0 offen
	v_add_nc_u32_e32 v19, s14, v87
	v_dot2acc_f32_f16 v61, v9, v12
	v_dot2acc_f32_f16 v57, v9, v13
	;; [unrolled: 1-line block ×3, first 2 shown]
	v_dual_dot2acc_f32_f16 v26, v9, v15 :: v_dual_dot2acc_f32_f16 v55, v10, v12
	v_dot2acc_f32_f16 v56, v10, v13
	v_dot2acc_f32_f16 v30, v10, v14
	v_dual_dot2acc_f32_f16 v31, v10, v15 :: v_dual_dot2acc_f32_f16 v54, v11, v12
	v_dot2acc_f32_f16 v53, v11, v13
	v_dot2acc_f32_f16 v36, v11, v14
	;; [unrolled: 1-line block ×3, first 2 shown]
	ds_load_b128 v[12:15], v86 offset:30720
	v_dual_dot2acc_f32_f16 v72, v9, v4 :: v_dual_lshlrev_b32 v21, 1, v19
	v_dot2acc_f32_f16 v71, v9, v5
	v_dot2acc_f32_f16 v27, v9, v6
	v_dual_dot2acc_f32_f16 v28, v9, v7 :: v_dual_dot2acc_f32_f16 v67, v10, v4
	v_dot2acc_f32_f16 v63, v10, v5
	v_dot2acc_f32_f16 v32, v10, v6
	;; [unrolled: 1-line block ×7, first 2 shown]
	ds_load_b128 v[4:7], v86 offset:30976
	ds_load_b128 v[8:11], v85 offset:14592
	buffer_load_b64 v[95:96], v21, s[36:39], 0 offen
	v_add_lshl_u32 v21, v19, s0, 1
	v_add_nc_u32_e32 v19, s14, v19
	s_mov_b32 s15, s47
	s_waitcnt lgkmcnt(2)
	v_dot2acc_f32_f16 v79, v0, v12
	buffer_load_b64 v[97:98], v21, s[36:39], 0 offen
	v_dual_dot2acc_f32_f16 v80, v0, v13 :: v_dual_lshlrev_b32 v21, 1, v19
	v_dot2acc_f32_f16 v51, v0, v14
	v_dual_dot2acc_f32_f16 v52, v0, v15 :: v_dual_dot2acc_f32_f16 v73, v1, v12
	buffer_load_b64 v[99:100], v21, s[36:39], 0 offen
	v_dot2acc_f32_f16 v74, v1, v13
	v_dot2acc_f32_f16 v45, v1, v14
	;; [unrolled: 1-line block ×5, first 2 shown]
	s_waitcnt lgkmcnt(1)
	v_dot2acc_f32_f16 v84, v0, v4
	v_dot2acc_f32_f16 v83, v0, v5
	;; [unrolled: 1-line block ×4, first 2 shown]
	v_add_lshl_u32 v0, v19, s0, 1
	v_add_nc_u32_e32 v19, s14, v19
	s_waitcnt lgkmcnt(0)
	v_dot2acc_f32_f16 v20, v8, v15
	v_dot2acc_f32_f16 v64, v8, v12
	;; [unrolled: 1-line block ×3, first 2 shown]
	buffer_load_b64 v[101:102], v0, s[36:39], 0 offen
	v_lshlrev_b32_e32 v21, 1, v19
	v_mad_u64_u32 v[87:88], null, s14, 61, v[19:20]
	v_dot2acc_f32_f16 v18, v8, v14
	v_dot2acc_f32_f16 v78, v8, v4
	buffer_load_b64 v[103:104], v21, s[36:39], 0 offen
	v_add_lshl_u32 v21, v19, s0, 1
	v_dot2acc_f32_f16 v76, v8, v5
	v_dual_dot2acc_f32_f16 v22, v8, v6 :: v_dual_lshlrev_b32 v19, 1, v87
	v_dot2acc_f32_f16 v24, v8, v7
	buffer_load_b64 v[105:106], v21, s[36:39], 0 offen
	v_add_lshl_u32 v8, v87, s0, 1
	v_dot2acc_f32_f16 v41, v2, v14
	buffer_load_b64 v[107:108], v19, s[36:39], 0 offen
	v_dual_dot2acc_f32_f16 v44, v2, v15 :: v_dual_dot2acc_f32_f16 v59, v3, v12
	buffer_load_b64 v[109:110], v8, s[36:39], 0 offen
	v_dual_dot2acc_f32_f16 v60, v3, v13 :: v_dual_add_nc_u32 v19, s14, v87
	v_dot2acc_f32_f16 v33, v3, v14
	v_dual_dot2acc_f32_f16 v35, v3, v15 :: v_dual_dot2acc_f32_f16 v82, v1, v4
	s_delay_alu instid0(VALU_DEP_3)
	v_lshlrev_b32_e32 v21, 1, v19
	v_dot2acc_f32_f16 v81, v1, v5
	v_dot2acc_f32_f16 v47, v1, v6
	v_dual_dot2acc_f32_f16 v48, v1, v7 :: v_dual_dot2acc_f32_f16 v77, v2, v4
	v_dot2acc_f32_f16 v75, v2, v5
	v_dot2acc_f32_f16 v42, v2, v6
	v_dual_dot2acc_f32_f16 v43, v2, v7 :: v_dual_dot2acc_f32_f16 v70, v3, v4
	v_dot2acc_f32_f16 v69, v3, v5
	v_dot2acc_f32_f16 v39, v3, v6
	;; [unrolled: 1-line block ×3, first 2 shown]
	ds_load_b128 v[0:3], v85 offset:14848
	v_dot2acc_f32_f16 v61, v9, v12
	v_dot2acc_f32_f16 v57, v9, v13
	;; [unrolled: 1-line block ×3, first 2 shown]
	v_dual_dot2acc_f32_f16 v26, v9, v15 :: v_dual_dot2acc_f32_f16 v55, v10, v12
	v_dot2acc_f32_f16 v56, v10, v13
	v_dot2acc_f32_f16 v30, v10, v14
	v_dual_dot2acc_f32_f16 v31, v10, v15 :: v_dual_dot2acc_f32_f16 v54, v11, v12
	v_dot2acc_f32_f16 v53, v11, v13
	v_dot2acc_f32_f16 v36, v11, v14
	;; [unrolled: 1-line block ×3, first 2 shown]
	ds_load_b128 v[12:15], v86 offset:31232
	v_dot2acc_f32_f16 v72, v9, v4
	v_dot2acc_f32_f16 v71, v9, v5
	;; [unrolled: 1-line block ×3, first 2 shown]
	v_dual_dot2acc_f32_f16 v28, v9, v7 :: v_dual_dot2acc_f32_f16 v67, v10, v4
	v_dot2acc_f32_f16 v63, v10, v5
	v_dot2acc_f32_f16 v32, v10, v6
	;; [unrolled: 1-line block ×7, first 2 shown]
	ds_load_b128 v[4:7], v86 offset:31488
	buffer_load_b64 v[111:112], v21, s[36:39], 0 offen
	v_add_lshl_u32 v21, v19, s0, 1
	v_add_nc_u32_e32 v19, s14, v19
	ds_load_b128 v[8:11], v85 offset:15104
	ds_load_b128 v[87:90], v86 offset:31744
	buffer_load_b64 v[113:114], v21, s[36:39], 0 offen
	v_lshlrev_b32_e32 v21, 1, v19
	s_waitcnt lgkmcnt(3)
	v_dot2acc_f32_f16 v79, v0, v12
	v_dot2acc_f32_f16 v80, v0, v13
	;; [unrolled: 1-line block ×4, first 2 shown]
	buffer_load_b64 v[115:116], v21, s[36:39], 0 offen
	v_dot2acc_f32_f16 v73, v1, v12
	v_dot2acc_f32_f16 v74, v1, v13
	;; [unrolled: 1-line block ×6, first 2 shown]
	s_waitcnt lgkmcnt(2)
	v_dot2acc_f32_f16 v84, v0, v4
	v_dot2acc_f32_f16 v83, v0, v5
	;; [unrolled: 1-line block ×4, first 2 shown]
	v_add_lshl_u32 v0, v19, s0, 1
	v_add_nc_u32_e32 v19, s14, v19
	v_dot2acc_f32_f16 v41, v2, v14
	v_dual_dot2acc_f32_f16 v44, v2, v15 :: v_dual_dot2acc_f32_f16 v59, v3, v12
	buffer_load_b64 v[117:118], v0, s[36:39], 0 offen
	v_lshlrev_b32_e32 v21, 1, v19
	v_add_lshl_u32 v19, v19, s0, 1
	v_dot2acc_f32_f16 v60, v3, v13
	v_dot2acc_f32_f16 v33, v3, v14
	;; [unrolled: 1-line block ×3, first 2 shown]
	s_clause 0x1
	buffer_load_b64 v[119:120], v21, s[36:39], 0 offen
	buffer_load_b64 v[121:122], v19, s[36:39], 0 offen
	v_dot2acc_f32_f16 v82, v1, v4
	v_dot2acc_f32_f16 v81, v1, v5
	;; [unrolled: 1-line block ×3, first 2 shown]
	v_dual_dot2acc_f32_f16 v48, v1, v7 :: v_dual_dot2acc_f32_f16 v77, v2, v4
	v_dot2acc_f32_f16 v75, v2, v5
	v_dot2acc_f32_f16 v42, v2, v6
	v_dual_dot2acc_f32_f16 v43, v2, v7 :: v_dual_dot2acc_f32_f16 v70, v3, v4
	v_dot2acc_f32_f16 v69, v3, v5
	v_dot2acc_f32_f16 v39, v3, v6
	;; [unrolled: 1-line block ×3, first 2 shown]
	ds_load_b128 v[0:3], v85 offset:15360
	s_waitcnt lgkmcnt(2)
	v_dot2acc_f32_f16 v64, v8, v12
	v_dot2acc_f32_f16 v65, v8, v13
	;; [unrolled: 1-line block ×3, first 2 shown]
	v_dual_dot2acc_f32_f16 v20, v8, v15 :: v_dual_dot2acc_f32_f16 v61, v9, v12
	v_dot2acc_f32_f16 v57, v9, v13
	v_dot2acc_f32_f16 v25, v9, v14
	v_dual_dot2acc_f32_f16 v26, v9, v15 :: v_dual_dot2acc_f32_f16 v55, v10, v12
	v_dot2acc_f32_f16 v56, v10, v13
	v_dot2acc_f32_f16 v30, v10, v14
	v_dual_dot2acc_f32_f16 v31, v10, v15 :: v_dual_dot2acc_f32_f16 v54, v11, v12
	v_dot2acc_f32_f16 v53, v11, v13
	v_dot2acc_f32_f16 v36, v11, v14
	v_dual_dot2acc_f32_f16 v37, v11, v15 :: v_dual_dot2acc_f32_f16 v78, v8, v4
	v_dot2acc_f32_f16 v76, v8, v5
	v_dot2acc_f32_f16 v22, v8, v6
	v_dot2acc_f32_f16 v24, v8, v7
	v_dot2acc_f32_f16 v72, v9, v4
	;; [unrolled: 1-line block ×4, first 2 shown]
	v_dual_dot2acc_f32_f16 v28, v9, v7 :: v_dual_dot2acc_f32_f16 v67, v10, v4
	v_dot2acc_f32_f16 v63, v10, v5
	v_dot2acc_f32_f16 v32, v10, v6
	;; [unrolled: 1-line block ×5, first 2 shown]
	ds_load_b128 v[12:15], v86 offset:32000
	v_dot2acc_f32_f16 v29, v11, v7
	v_dual_dot2acc_f32_f16 v38, v11, v6 :: v_dual_add_nc_u32 v19, 64, v17
	ds_load_b128 v[4:7], v85 offset:15616
	s_waitcnt lgkmcnt(2)
	v_dot2acc_f32_f16 v79, v0, v87
	v_dot2acc_f32_f16 v80, v0, v88
	;; [unrolled: 1-line block ×3, first 2 shown]
	v_dual_dot2acc_f32_f16 v52, v0, v90 :: v_dual_dot2acc_f32_f16 v73, v1, v87
	v_dot2acc_f32_f16 v74, v1, v88
	v_dot2acc_f32_f16 v45, v1, v89
	;; [unrolled: 1-line block ×6, first 2 shown]
	v_dual_dot2acc_f32_f16 v44, v2, v90 :: v_dual_dot2acc_f32_f16 v59, v3, v87
	v_dot2acc_f32_f16 v60, v3, v88
	v_dot2acc_f32_f16 v33, v3, v89
	s_waitcnt lgkmcnt(1)
	v_dual_dot2acc_f32_f16 v35, v3, v90 :: v_dual_dot2acc_f32_f16 v84, v0, v12
	v_dot2acc_f32_f16 v83, v0, v13
	v_dot2acc_f32_f16 v49, v0, v14
	;; [unrolled: 1-line block ×6, first 2 shown]
	v_dual_dot2acc_f32_f16 v48, v1, v15 :: v_dual_dot2acc_f32_f16 v77, v2, v12
	v_dot2acc_f32_f16 v75, v2, v13
	v_dot2acc_f32_f16 v42, v2, v14
	v_dual_dot2acc_f32_f16 v43, v2, v15 :: v_dual_dot2acc_f32_f16 v70, v3, v12
	v_dot2acc_f32_f16 v69, v3, v13
	v_dot2acc_f32_f16 v39, v3, v14
	;; [unrolled: 1-line block ×3, first 2 shown]
	ds_load_b128 v[0:3], v85 offset:15872
	s_waitcnt lgkmcnt(1)
	v_dot2acc_f32_f16 v64, v4, v87
	v_dot2acc_f32_f16 v65, v4, v88
	;; [unrolled: 1-line block ×3, first 2 shown]
	v_dual_dot2acc_f32_f16 v20, v4, v90 :: v_dual_dot2acc_f32_f16 v61, v5, v87
	v_dot2acc_f32_f16 v57, v5, v88
	v_dot2acc_f32_f16 v25, v5, v89
	v_dual_dot2acc_f32_f16 v26, v5, v90 :: v_dual_dot2acc_f32_f16 v55, v6, v87
	v_dot2acc_f32_f16 v56, v6, v88
	v_dot2acc_f32_f16 v30, v6, v89
	;; [unrolled: 3-line block ×3, first 2 shown]
	ds_load_b128 v[8:11], v86 offset:32256
	v_dual_dot2acc_f32_f16 v37, v7, v90 :: v_dual_dot2acc_f32_f16 v78, v4, v12
	v_dot2acc_f32_f16 v76, v4, v13
	v_dot2acc_f32_f16 v22, v4, v14
	;; [unrolled: 1-line block ×6, first 2 shown]
	v_dual_dot2acc_f32_f16 v28, v5, v15 :: v_dual_dot2acc_f32_f16 v67, v6, v12
	v_dot2acc_f32_f16 v63, v6, v13
	v_dot2acc_f32_f16 v32, v6, v14
	;; [unrolled: 1-line block ×5, first 2 shown]
	ds_load_b128 v[86:89], v86 offset:32512
	v_dot2acc_f32_f16 v38, v7, v14
	v_dot2acc_f32_f16 v29, v7, v15
	ds_load_b128 v[4:7], v85 offset:16128
	v_cmp_gt_i32_e64 s0, s29, v16
	v_cmp_gt_i32_e64 s2, s30, v19
	s_waitcnt lgkmcnt(2)
	v_dot2acc_f32_f16 v79, v0, v8
	v_dot2acc_f32_f16 v51, v0, v10
	;; [unrolled: 1-line block ×3, first 2 shown]
	s_and_b32 s1, s0, vcc_lo
	s_and_b32 s0, s0, s2
	v_or_b32_e32 v23, 1, v16
	v_dot2acc_f32_f16 v73, v1, v8
	v_dot2acc_f32_f16 v74, v1, v9
	v_dot2acc_f32_f16 v45, v1, v10
	v_dot2acc_f32_f16 v46, v1, v11
	v_dot2acc_f32_f16 v68, v2, v9
	v_dot2acc_f32_f16 v41, v2, v10
	v_dual_dot2acc_f32_f16 v44, v2, v11 :: v_dual_dot2acc_f32_f16 v59, v3, v8
	s_waitcnt lgkmcnt(1)
	v_dot2acc_f32_f16 v83, v0, v87
	v_dot2acc_f32_f16 v49, v0, v88
	;; [unrolled: 1-line block ×3, first 2 shown]
	s_waitcnt lgkmcnt(0)
	v_dot2acc_f32_f16 v30, v6, v10
	v_dot2acc_f32_f16 v80, v0, v9
	;; [unrolled: 1-line block ×3, first 2 shown]
	v_dual_dot2acc_f32_f16 v84, v0, v86 :: v_dual_dot2acc_f32_f16 v81, v1, v87
	v_dot2acc_f32_f16 v47, v1, v88
	v_dual_dot2acc_f32_f16 v48, v1, v89 :: v_dual_dot2acc_f32_f16 v77, v2, v86
	v_dot2acc_f32_f16 v75, v2, v87
	v_dot2acc_f32_f16 v42, v2, v88
	v_dual_dot2acc_f32_f16 v43, v2, v89 :: v_dual_dot2acc_f32_f16 v20, v4, v11
	v_dot2acc_f32_f16 v82, v1, v86
	v_dual_dot2acc_f32_f16 v25, v5, v10 :: v_dual_dot2acc_f32_f16 v66, v2, v8
	v_dot2acc_f32_f16 v33, v3, v10
	v_dot2acc_f32_f16 v35, v3, v11
	;; [unrolled: 1-line block ×7, first 2 shown]
	s_waitcnt vmcnt(15)
	v_cndmask_b32_e64 v0, 0, v91, s1
	v_dot2acc_f32_f16 v60, v3, v9
	v_cndmask_b32_e64 v15, 0, v92, s1
	v_dot2acc_f32_f16 v64, v4, v8
	v_dot2acc_f32_f16 v65, v4, v9
	v_lshrrev_b32_e32 v1, 16, v0
	v_cvt_f32_f16_e32 v0, v0
	v_dot2acc_f32_f16 v18, v4, v10
	s_waitcnt vmcnt(14)
	v_cndmask_b32_e64 v2, 0, v93, s0
	v_cndmask_b32_e64 v21, 0, v94, s0
	v_cmp_gt_i32_e64 s0, s29, v23
	v_cvt_f32_f16_e32 v1, v1
	v_dot2acc_f32_f16 v78, v4, v86
	v_cvt_f32_f16_e32 v3, v2
	v_lshrrev_b32_e32 v2, 16, v2
	s_and_b32 s1, s0, vcc_lo
	v_dot2acc_f32_f16 v76, v4, v87
	v_dot2acc_f32_f16 v24, v4, v89
	v_dual_add_f32 v0, v79, v0 :: v_dual_add_f32 v1, v80, v1
	v_cvt_f32_f16_e32 v2, v2
	v_dot2acc_f32_f16 v72, v5, v86
	v_dot2acc_f32_f16 v67, v6, v86
	;; [unrolled: 1-line block ×3, first 2 shown]
	s_and_b32 s0, s0, s2
	v_or_b32_e32 v86, 2, v16
	v_dual_add_f32 v3, v84, v3 :: v_dual_max_f32 v80, 0, v0
	v_max_f32_e32 v84, 0, v1
	v_dual_add_f32 v0, v83, v2 :: v_dual_dot2acc_f32_f16 v71, v5, v87
	v_dot2acc_f32_f16 v63, v6, v87
	v_dot2acc_f32_f16 v62, v7, v87
	v_max_f32_e32 v85, 0, v3
	s_delay_alu instid0(VALU_DEP_4)
	v_dual_max_f32 v87, 0, v0 :: v_dual_dot2acc_f32_f16 v28, v5, v89
	v_dot2acc_f32_f16 v34, v6, v89
	s_waitcnt vmcnt(13)
	v_cndmask_b32_e64 v4, 0, v95, s1
	v_cndmask_b32_e64 v79, 0, v96, s1
	v_dot2acc_f32_f16 v29, v7, v89
	v_or_b32_e32 v89, 3, v16
	v_dot2acc_f32_f16 v27, v5, v88
	v_lshrrev_b32_e32 v1, 16, v4
	s_waitcnt vmcnt(12)
	v_cndmask_b32_e64 v2, 0, v97, s0
	v_cndmask_b32_e64 v83, 0, v98, s0
	v_cmp_gt_i32_e64 s0, s29, v86
	v_cvt_f32_f16_e32 v0, v4
	v_cvt_f32_f16_e32 v1, v1
	;; [unrolled: 1-line block ×3, first 2 shown]
	v_lshrrev_b32_e32 v2, 16, v2
	s_and_b32 s1, s0, vcc_lo
	s_delay_alu instid0(VALU_DEP_3)
	v_dual_add_f32 v0, v73, v0 :: v_dual_add_f32 v1, v74, v1
	s_waitcnt vmcnt(11)
	v_cndmask_b32_e64 v4, 0, v99, s1
	v_cvt_f32_f16_e32 v2, v2
	s_and_b32 s0, s0, s2
	v_dual_add_f32 v3, v82, v3 :: v_dual_max_f32 v74, 0, v0
	v_max_f32_e32 v82, 0, v1
	s_delay_alu instid0(VALU_DEP_3)
	v_add_f32_e32 v0, v81, v2
	v_lshrrev_b32_e32 v1, 16, v4
	v_dot2acc_f32_f16 v32, v6, v88
	v_dot2acc_f32_f16 v38, v7, v88
	v_max_f32_e32 v88, 0, v3
	s_waitcnt vmcnt(10)
	v_cndmask_b32_e64 v2, 0, v101, s0
	v_cndmask_b32_e64 v81, 0, v102, s0
	v_max_f32_e32 v90, 0, v0
	v_cvt_f32_f16_e32 v0, v4
	v_cvt_f32_f16_e32 v1, v1
	v_cvt_f32_f16_e32 v3, v2
	v_cmp_gt_i32_e64 s0, s29, v89
	v_lshrrev_b32_e32 v2, 16, v2
	v_cndmask_b32_e64 v73, 0, v100, s1
	v_dual_add_f32 v0, v66, v0 :: v_dual_add_f32 v1, v68, v1
	v_add_f32_e32 v3, v77, v3
	s_and_b32 s1, s0, vcc_lo
	v_cvt_f32_f16_e32 v2, v2
	s_waitcnt vmcnt(9)
	v_cndmask_b32_e64 v4, 0, v103, s1
	s_and_b32 s0, s0, s2
	v_dual_max_f32 v68, 0, v0 :: v_dual_max_f32 v77, 0, v1
	v_max_f32_e32 v91, 0, v3
	v_add_f32_e32 v1, v75, v2
	s_waitcnt vmcnt(8)
	v_cndmask_b32_e64 v3, 0, v105, s0
	v_add_nc_u32_e32 v0, 64, v16
	v_lshrrev_b32_e32 v2, 16, v4
	v_cndmask_b32_e64 v75, 0, v106, s0
	v_max_f32_e32 v92, 0, v1
	v_cvt_f32_f16_e32 v1, v4
	v_cvt_f32_f16_e32 v4, v3
	v_cmp_gt_i32_e64 s0, s29, v0
	v_cvt_f32_f16_e32 v2, v2
	v_lshrrev_b32_e32 v3, 16, v3
	v_cndmask_b32_e64 v66, 0, v104, s1
	v_add_f32_e32 v4, v70, v4
	s_and_b32 s1, s0, vcc_lo
	v_dot2acc_f32_f16 v55, v6, v8
	v_dot2acc_f32_f16 v56, v6, v9
	v_dual_dot2acc_f32_f16 v31, v6, v11 :: v_dual_add_f32 v2, v60, v2
	v_cvt_f32_f16_e32 v3, v3
	s_waitcnt vmcnt(7)
	v_cndmask_b32_e64 v6, 0, v107, s1
	v_dot2acc_f32_f16 v61, v5, v8
	v_dot2acc_f32_f16 v57, v5, v9
	v_dual_add_f32 v5, v59, v1 :: v_dual_max_f32 v70, 0, v4
	v_add_nc_u32_e32 v4, 0x41, v16
	v_max_f32_e32 v60, 0, v2
	v_add_f32_e32 v2, v69, v3
	v_lshrrev_b32_e32 v3, 16, v6
	s_and_b32 s0, s0, s2
	v_dot2acc_f32_f16 v54, v7, v8
	v_dot2acc_f32_f16 v53, v7, v9
	;; [unrolled: 1-line block ×4, first 2 shown]
	v_max_f32_e32 v59, 0, v5
	s_waitcnt vmcnt(6)
	v_cndmask_b32_e64 v5, 0, v110, s0
	v_cndmask_b32_e64 v7, 0, v109, s0
	v_cmp_gt_i32_e64 s0, s29, v4
	v_max_f32_e32 v69, 0, v2
	v_cvt_f32_f16_e32 v2, v6
	v_cvt_f32_f16_e32 v3, v3
	v_cndmask_b32_e64 v1, 0, v108, s1
	s_and_b32 s1, s0, vcc_lo
	v_add_nc_u32_e32 v10, 0x42, v16
	v_add_f32_e32 v2, v64, v2
	v_add_f32_e32 v8, v65, v3
	s_waitcnt vmcnt(5)
	v_cndmask_b32_e64 v9, 0, v111, s1
	s_and_b32 s0, s0, s2
	v_cndmask_b32_e64 v13, 0, v112, s1
	v_dual_max_f32 v3, 0, v2 :: v_dual_max_f32 v2, 0, v8
	s_delay_alu instid0(VALU_DEP_3)
	v_lshrrev_b32_e32 v11, 16, v9
	s_waitcnt vmcnt(4)
	v_cndmask_b32_e64 v8, 0, v114, s0
	v_cndmask_b32_e64 v12, 0, v113, s0
	v_cmp_gt_i32_e64 s0, s29, v10
	v_cvt_f32_f16_e32 v9, v9
	v_cvt_f32_f16_e32 v11, v11
	;; [unrolled: 1-line block ×4, first 2 shown]
	s_and_b32 s1, s0, vcc_lo
	v_lshrrev_b32_e32 v12, 16, v12
	v_add_f32_e32 v9, v61, v9
	s_waitcnt vmcnt(3)
	v_cndmask_b32_e64 v64, 0, v115, s1
	v_dual_add_f32 v11, v57, v11 :: v_dual_add_f32 v14, v72, v14
	v_cvt_f32_f16_e32 v57, v12
	v_max_f32_e32 v65, 0, v9
	s_delay_alu instid0(VALU_DEP_4) | instskip(NEXT) | instid1(VALU_DEP_4)
	v_lshrrev_b32_e32 v9, 16, v64
	v_dual_max_f32 v12, 0, v11 :: v_dual_max_f32 v11, 0, v14
	s_delay_alu instid0(VALU_DEP_4)
	v_add_f32_e32 v14, v71, v57
	s_and_b32 s0, s0, s2
	v_add_nc_u32_e32 v71, 0x43, v16
	v_cvt_f32_f16_e32 v57, v64
	v_cvt_f32_f16_e32 v9, v9
	s_waitcnt vmcnt(2)
	v_cndmask_b32_e64 v72, 0, v117, s0
	v_cndmask_b32_e64 v64, 0, v118, s0
	v_cmp_gt_i32_e64 s0, s29, v71
	v_add_f32_e32 v55, v55, v57
	v_dual_add_f32 v56, v56, v9 :: v_dual_max_f32 v9, 0, v14
	v_cvt_f32_f16_e32 v14, v72
	v_lshrrev_b32_e32 v57, 16, v72
	s_and_b32 vcc_lo, s0, vcc_lo
	s_and_b32 s0, s0, s2
	v_add_f32_e32 v6, v78, v6
	s_waitcnt vmcnt(1)
	v_dual_add_f32 v14, v67, v14 :: v_dual_cndmask_b32 v67, 0, v119
	v_cvt_f32_f16_e32 v57, v57
	s_waitcnt vmcnt(0)
	v_cndmask_b32_e64 v78, 0, v121, s0
	v_lshrrev_b32_e32 v7, 16, v7
	v_cndmask_b32_e64 v61, 0, v116, s1
	v_cvt_f32_f16_e32 v93, v67
	v_add_f32_e32 v57, v63, v57
	v_lshrrev_b32_e32 v63, 16, v67
	v_max_f32_e32 v67, 0, v14
	v_lshrrev_b32_e32 v14, 16, v78
	v_add_f32_e32 v54, v54, v93
	v_lshrrev_b32_e32 v93, 16, v15
	v_cvt_f32_f16_e32 v63, v63
	v_cvt_f32_f16_e32 v15, v15
	;; [unrolled: 1-line block ×4, first 2 shown]
	s_delay_alu instid0(VALU_DEP_4) | instskip(SKIP_1) | instid1(VALU_DEP_4)
	v_dual_cndmask_b32 v72, 0, v120 :: v_dual_add_f32 v53, v53, v63
	v_cvt_f32_f16_e32 v63, v93
	v_add_f32_e32 v62, v62, v14
	v_mul_lo_u32 v14, v16, s24
	v_add_f32_e32 v15, v51, v15
	v_cmp_gt_i32_e32 vcc_lo, s27, v17
	v_add_f32_e32 v63, v52, v63
	v_cmp_gt_i32_e64 s1, s26, v16
	v_cvt_f16_f32_e32 v16, v84
	v_add_f32_e32 v7, v76, v7
	v_cndmask_b32_e64 v76, 0, v122, s0
	v_mad_u64_u32 v[51:52], null, v17, s25, v[14:15]
	v_max_f32_e32 v52, 0, v63
	v_max_f32_e32 v15, 0, v15
	v_cvt_f16_f32_e32 v14, v80
	s_and_b32 s0, s1, vcc_lo
	s_lshl_b32 s14, s28, 1
	v_cvt_f16_f32_e32 v17, v52
	v_cvt_f16_f32_e32 v15, v15
	v_lshrrev_b32_e32 v52, 16, v21
	v_pack_b32_f16 v14, v14, v16
	v_cndmask_b32_e64 v16, 0x80000000, 0, s0
	v_cvt_f32_f16_e32 v21, v21
	v_pack_b32_f16 v15, v15, v17
	v_cvt_f32_f16_e32 v17, v52
	v_cmp_gt_i32_e64 s0, s27, v19
	v_lshl_add_u32 v16, v51, 1, v16
	v_add_f32_e32 v21, v49, v21
	s_lshl_b32 s2, s25, 6
	v_add_f32_e32 v17, v50, v17
	s_and_b32 s1, s1, s0
	buffer_store_b64 v[14:15], v16, s[12:15], 0 offen
	v_dual_max_f32 v19, 0, v21 :: v_dual_add_nc_u32 v16, s2, v51
	v_max_f32_e32 v15, 0, v17
	v_lshrrev_b32_e32 v17, 16, v83
	v_cvt_f16_f32_e32 v14, v85
	v_cvt_f16_f32_e32 v21, v87
	;; [unrolled: 1-line block ×4, first 2 shown]
	v_cvt_f32_f16_e32 v17, v17
	v_cndmask_b32_e64 v49, 0x80000000, 0, s1
	v_cvt_f32_f16_e32 v50, v83
	v_pack_b32_f16 v14, v14, v21
	v_pack_b32_f16 v15, v19, v15
	v_add_f32_e32 v17, v48, v17
	v_lshl_add_u32 v19, v16, 1, v49
	v_add_f32_e32 v21, v47, v50
	v_add_nc_u32_e32 v47, s24, v16
	v_cvt_f32_f16_e32 v52, v79
	v_max_f32_e32 v16, 0, v17
	v_lshrrev_b32_e32 v17, 16, v79
	v_max_f32_e32 v21, 0, v21
	v_cmp_gt_i32_e64 s1, s26, v23
	v_add_f32_e32 v45, v45, v52
	v_cvt_f16_f32_e32 v48, v88
	v_cvt_f32_f16_e32 v17, v17
	v_cvt_f16_f32_e32 v49, v90
	v_cvt_f16_f32_e32 v50, v16
	;; [unrolled: 1-line block ×3, first 2 shown]
	v_max_f32_e32 v45, 0, v45
	v_add_f32_e32 v23, v46, v17
	v_pack_b32_f16 v16, v48, v49
	v_add_nc_u32_e32 v48, s24, v51
	v_pack_b32_f16 v17, v21, v50
	v_cvt_f16_f32_e32 v46, v74
	v_max_f32_e32 v23, 0, v23
	v_cvt_f16_f32_e32 v49, v82
	v_cvt_f16_f32_e32 v50, v45
	v_lshrrev_b32_e32 v51, 16, v73
	s_and_b32 s3, s1, s0
	v_cvt_f16_f32_e32 v23, v23
	v_cndmask_b32_e64 v21, 0x80000000, 0, s3
	v_pack_b32_f16 v45, v46, v49
	buffer_store_b64 v[14:15], v19, s[12:15], 0 offen
	v_cvt_f32_f16_e32 v14, v73
	v_pack_b32_f16 v46, v50, v23
	v_cvt_f32_f16_e32 v23, v51
	v_lshrrev_b32_e32 v19, 16, v81
	s_and_b32 s1, s1, vcc_lo
	v_lshl_add_u32 v21, v47, 1, v21
	v_cndmask_b32_e64 v52, 0x80000000, 0, s1
	v_cmp_gt_i32_e64 s1, s26, v86
	v_dual_add_f32 v15, v44, v23 :: v_dual_add_f32 v14, v41, v14
	v_cvt_f32_f16_e32 v19, v19
	buffer_store_b64 v[16:17], v21, s[12:15], 0 offen
	s_and_b32 s3, s1, vcc_lo
	v_add_nc_u32_e32 v16, s24, v48
	v_cvt_f16_f32_e32 v17, v68
	v_max_f32_e32 v15, 0, v15
	v_cvt_f16_f32_e32 v21, v77
	v_max_f32_e32 v14, 0, v14
	v_cvt_f32_f16_e32 v23, v81
	v_cndmask_b32_e64 v44, 0x80000000, 0, s3
	v_add_f32_e32 v19, v43, v19
	v_cvt_f16_f32_e32 v15, v15
	v_cvt_f16_f32_e32 v41, v14
	v_add_f32_e32 v23, v42, v23
	v_pack_b32_f16 v14, v17, v21
	v_lshl_add_u32 v21, v16, 1, v44
	v_max_f32_e32 v16, 0, v19
	v_lshrrev_b32_e32 v19, 16, v75
	v_pack_b32_f16 v15, v41, v15
	v_max_f32_e32 v17, 0, v23
	v_cvt_f16_f32_e32 v23, v91
	v_cvt_f16_f32_e32 v41, v92
	v_cvt_f32_f16_e32 v19, v19
	v_cvt_f32_f16_e32 v43, v75
	v_cvt_f16_f32_e32 v42, v16
	s_and_b32 s1, s1, s0
	v_pack_b32_f16 v16, v23, v41
	v_add_f32_e32 v19, v40, v19
	v_add_f32_e32 v23, v39, v43
	v_lshl_add_u32 v49, v48, 1, v52
	v_cvt_f16_f32_e32 v17, v17
	v_cndmask_b32_e64 v39, 0x80000000, 0, s1
	v_max_f32_e32 v19, 0, v19
	v_cmp_gt_i32_e64 s1, s26, v89
	v_max_f32_e32 v23, 0, v23
	v_add_nc_u32_e32 v44, s24, v47
	buffer_store_b64 v[45:46], v49, s[12:15], 0 offen
	v_pack_b32_f16 v17, v17, v42
	v_cvt_f16_f32_e32 v40, v70
	v_cvt_f16_f32_e32 v42, v69
	;; [unrolled: 1-line block ×3, first 2 shown]
	s_and_b32 s3, s1, s0
	v_cvt_f16_f32_e32 v23, v23
	v_lshrrev_b32_e32 v45, 16, v66
	v_add_nc_u32_e32 v41, s24, v44
	v_cndmask_b32_e64 v43, 0x80000000, 0, s3
	v_lshl_add_u32 v44, v44, 1, v39
	v_pack_b32_f16 v39, v40, v42
	v_pack_b32_f16 v40, v23, v19
	v_cvt_f32_f16_e32 v23, v45
	v_cvt_f32_f16_e32 v42, v66
	v_lshl_add_u32 v19, v41, 1, v43
	s_clause 0x2
	buffer_store_b64 v[14:15], v21, s[12:15], 0 offen
	buffer_store_b64 v[16:17], v44, s[12:15], 0 offen
	;; [unrolled: 1-line block ×3, first 2 shown]
	v_dual_add_f32 v14, v35, v23 :: v_dual_add_f32 v15, v33, v42
	v_lshrrev_b32_e32 v17, 16, v72
	v_subrev_nc_u32_e32 v16, s2, v41
	v_cvt_f32_f16_e32 v23, v72
	s_delay_alu instid0(VALU_DEP_4) | instskip(NEXT) | instid1(VALU_DEP_4)
	v_dual_max_f32 v14, 0, v14 :: v_dual_max_f32 v15, 0, v15
	v_cvt_f32_f16_e32 v17, v17
	s_and_b32 s1, s1, vcc_lo
	v_cvt_f16_f32_e32 v19, v59
	v_cvt_f16_f32_e32 v21, v60
	;; [unrolled: 1-line block ×4, first 2 shown]
	v_lshlrev_b32_e32 v35, 1, v16
	v_add_f32_e32 v17, v37, v17
	v_add_f32_e32 v23, v36, v23
	v_cndmask_b32_e64 v36, 0x80000000, 0, s1
	v_dual_max_f32 v54, 0, v54 :: v_dual_max_f32 v53, 0, v53
	v_pack_b32_f16 v14, v19, v21
	v_pack_b32_f16 v15, v15, v33
	v_max_f32_e32 v17, 0, v17
	v_max_f32_e32 v19, 0, v23
	v_add_nc_u32_e32 v21, v35, v36
	v_lshrrev_b32_e32 v36, 16, v76
	v_cmp_gt_i32_e64 s1, s26, v71
	v_cvt_f16_f32_e32 v23, v54
	v_cvt_f16_f32_e32 v33, v53
	;; [unrolled: 1-line block ×4, first 2 shown]
	buffer_store_b64 v[14:15], v21, s[12:15], 0 offen
	v_cvt_f32_f16_e32 v21, v36
	s_and_b32 s3, s1, vcc_lo
	v_cvt_f32_f16_e32 v78, v78
	v_pack_b32_f16 v14, v23, v33
	v_cvt_f32_f16_e32 v23, v76
	v_pack_b32_f16 v15, v19, v17
	v_cndmask_b32_e64 v17, 0x80000000, 0, s3
	v_add_f32_e32 v19, v29, v21
	s_lshl_b32 s3, s24, 7
	v_add_f32_e32 v58, v58, v78
	v_add_f32_e32 v21, v38, v23
	v_add3_u32 v23, v17, s3, v35
	v_lshl_add_u32 v29, s4, 6, v16
	v_max_f32_e32 v16, 0, v19
	v_lshrrev_b32_e32 v17, 16, v64
	v_max_f32_e32 v58, 0, v58
	v_dual_max_f32 v62, 0, v62 :: v_dual_max_f32 v19, 0, v21
	s_delay_alu instid0(VALU_DEP_4) | instskip(NEXT) | instid1(VALU_DEP_4)
	v_cvt_f16_f32_e32 v35, v16
	v_cvt_f32_f16_e32 v16, v17
	v_cvt_f32_f16_e32 v17, v64
	v_cvt_f16_f32_e32 v21, v58
	v_cvt_f16_f32_e32 v33, v62
	s_and_b32 s1, s1, s0
	v_add_f32_e32 v34, v34, v16
	v_add_f32_e32 v32, v32, v17
	v_max_f32_e32 v57, 0, v57
	v_cvt_f16_f32_e32 v19, v19
	v_cndmask_b32_e64 v36, 0x80000000, 0, s1
	v_pack_b32_f16 v16, v21, v33
	v_dual_max_f32 v21, 0, v34 :: v_dual_max_f32 v32, 0, v32
	s_delay_alu instid0(VALU_DEP_4) | instskip(NEXT) | instid1(VALU_DEP_4)
	v_pack_b32_f16 v17, v19, v35
	v_lshl_add_u32 v19, v29, 1, v36
	v_cvt_f16_f32_e32 v33, v67
	v_cvt_f16_f32_e32 v34, v57
	;; [unrolled: 1-line block ×4, first 2 shown]
	v_lshrrev_b32_e32 v36, 16, v61
	s_clause 0x1
	buffer_store_b64 v[14:15], v23, s[12:15], 0 offen
	buffer_store_b64 v[16:17], v19, s[12:15], 0 offen
	v_pack_b32_f16 v32, v33, v34
	v_cvt_f32_f16_e32 v34, v61
	v_pack_b32_f16 v33, v35, v21
	v_cvt_f32_f16_e32 v21, v36
	v_cmp_ge_i32_e64 s1, s26, v71
	v_max_f32_e32 v55, 0, v55
	v_dual_add_f32 v15, v30, v34 :: v_dual_max_f32 v56, 0, v56
	s_delay_alu instid0(VALU_DEP_4) | instskip(SKIP_2) | instid1(VALU_DEP_3)
	v_add_f32_e32 v14, v31, v21
	v_lshrrev_b32_e32 v19, 16, v13
	s_and_b32 s1, s1, s0
	v_max_f32_e32 v15, 0, v15
	v_cndmask_b32_e64 v37, 0x80000000, 0, s1
	v_max_f32_e32 v14, 0, v14
	v_cmp_gt_i32_e64 s1, s26, v10
	v_subrev_nc_u32_e32 v29, s24, v29
	v_cvt_f16_f32_e32 v17, v55
	v_cvt_f16_f32_e32 v21, v56
	v_cvt_f16_f32_e32 v14, v14
	v_cvt_f16_f32_e32 v15, v15
	v_cvt_f32_f16_e32 v19, v19
	v_cvt_f32_f16_e32 v23, v13
	s_and_b32 s1, s1, vcc_lo
	v_lshl_add_u32 v35, v29, 1, v37
	v_subrev_nc_u32_e32 v16, s2, v29
	v_cndmask_b32_e64 v29, 0x80000000, 0, s1
	v_pack_b32_f16 v13, v17, v21
	v_pack_b32_f16 v14, v15, v14
	v_add_f32_e32 v15, v26, v19
	v_add_f32_e32 v17, v25, v23
	v_lshrrev_b32_e32 v23, 16, v8
	v_cmp_ge_i32_e64 s1, s26, v10
	v_lshl_add_u32 v19, v16, 1, v29
	v_subrev_nc_u32_e32 v21, s24, v16
	v_cvt_f16_f32_e32 v16, v65
	v_max_f32_e32 v15, 0, v15
	v_max_f32_e32 v17, 0, v17
	v_cvt_f16_f32_e32 v10, v12
	v_cvt_f32_f16_e32 v23, v23
	v_cvt_f32_f16_e32 v8, v8
	s_and_b32 s1, s1, vcc_lo
	v_cvt_f16_f32_e32 v12, v15
	v_cvt_f16_f32_e32 v17, v17
	v_cndmask_b32_e64 v25, 0x80000000, 0, s1
	v_pack_b32_f16 v15, v16, v10
	v_add_f32_e32 v10, v28, v23
	v_add_f32_e32 v8, v27, v8
	v_pack_b32_f16 v16, v17, v12
	v_lshl_add_u32 v12, v21, 1, v25
	s_delay_alu instid0(VALU_DEP_4) | instskip(NEXT) | instid1(VALU_DEP_4)
	v_dual_max_f32 v10, 0, v10 :: v_dual_add_nc_u32 v17, s2, v21
	v_max_f32_e32 v8, 0, v8
	v_lshrrev_b32_e32 v21, 16, v5
	v_dual_max_f32 v6, 0, v6 :: v_dual_max_f32 v7, 0, v7
	v_cvt_f16_f32_e32 v11, v11
	v_cvt_f16_f32_e32 v9, v9
	;; [unrolled: 1-line block ×4, first 2 shown]
	v_cvt_f32_f16_e32 v21, v21
	v_cvt_f32_f16_e32 v5, v5
	v_cmp_gt_i32_e64 s1, s26, v4
	v_pack_b32_f16 v8, v11, v9
	v_pack_b32_f16 v9, v23, v10
	v_add_f32_e32 v10, v24, v21
	v_cvt_f16_f32_e32 v6, v6
	v_add_f32_e32 v5, v22, v5
	v_cvt_f16_f32_e32 v7, v7
	v_lshrrev_b32_e32 v21, 16, v1
	s_and_b32 s1, s1, s0
	v_cvt_f32_f16_e32 v1, v1
	v_cndmask_b32_e64 v25, 0x80000000, 0, s1
	v_max_f32_e32 v22, 0, v5
	v_pack_b32_f16 v5, v6, v7
	v_cvt_f32_f16_e32 v7, v21
	v_cmp_ge_i32_e64 s1, s26, v4
	v_cmp_gt_i32_e64 s2, s26, v0
	v_lshl_add_u32 v11, v17, 1, v25
	v_max_f32_e32 v10, 0, v10
	v_subrev_nc_u32_e32 v17, s24, v17
	v_dual_add_f32 v7, v20, v7 :: v_dual_add_f32 v0, v18, v1
	s_and_b32 s0, s1, s0
	s_delay_alu instid0(VALU_DEP_3)
	v_cvt_f16_f32_e32 v6, v10
	v_cndmask_b32_e64 v1, 0x80000000, 0, s0
	s_and_b32 s0, s2, vcc_lo
	v_dual_max_f32 v7, 0, v7 :: v_dual_lshlrev_b32 v10, 1, v17
	v_max_f32_e32 v0, 0, v0
	v_cndmask_b32_e64 v17, 0x80000000, 0, s0
	s_lshl_b32 s0, s25, 7
	v_cvt_f16_f32_e32 v4, v22
	v_cvt_f16_f32_e32 v3, v3
	;; [unrolled: 1-line block ×5, first 2 shown]
	v_subrev_nc_u32_e32 v17, s0, v17
	v_pack_b32_f16 v6, v4, v6
	v_add_nc_u32_e32 v4, v10, v1
	v_pack_b32_f16 v0, v3, v2
	v_pack_b32_f16 v1, v18, v7
	v_add_nc_u32_e32 v2, v17, v10
	s_clause 0x5
	buffer_store_b64 v[32:33], v35, s[12:15], 0 offen
	buffer_store_b64 v[13:14], v19, s[12:15], 0 offen
	;; [unrolled: 1-line block ×6, first 2 shown]
	s_nop 0
	s_sendmsg sendmsg(MSG_DEALLOC_VGPRS)
	s_endpgm
	.section	.rodata,"a",@progbits
	.p2align	6, 0x0
	.amdhsa_kernel _ZN2ck16tensor_operation6device12_GLOBAL__N_137kernel_grouped_conv_fwd_dl_multiple_dINS_32GridwiseGemmDlMultipleD_km_kn_mnILi256EDF16_fNS_5TupleIJDF16_EEEDF16_NS0_12element_wise11PassThroughES8_NS7_7AddReluELNS_25InMemoryDataOperationEnumE0ENS_16TensorDescriptorINS5_IJNS_5EmbedINS5_IJiiiiiEEESD_Lb0EEENS_11PassThroughIiEENS_3PadIiiiLb0EEESI_SI_SG_SG_NSC_INS5_IJiiEEESJ_Lb0EEESK_SK_SG_NS_23Merge_v2_magic_divisionINS5_IJiiiiEEEEESN_NS_8RightPadIiiLb0EEESP_NS_7UnMergeISJ_Lb0EEESG_EEENS5_IJNS_8SequenceIJLi0EEEENST_IJLi1EEEENST_IJLi2EEEENST_IJLi3EEEENST_IJLi4EEEENST_IJLi5EEEENST_IJLi6EEEENST_IJLi7EEEENST_IJLi8EEEENST_IJLi9EEEENST_IJLi10EEEENST_IJLi11ELi13ELi15ELi17EEEENST_IJLi12ELi14ELi16ELi18EEEENST_IJLi19EEEENST_IJLi20EEEENST_IJLi22EEEENST_IJLi21EEEEEEENS5_IJNST_IJLi1ELi2ELi3ELi4ELi5EEEES10_S11_S12_S13_S14_NST_IJLi11EEEENST_IJLi12ELi13EEEENST_IJLi14ELi15EEEENST_IJLi16ELi17EEEENST_IJLi18EEEES17_S18_S1A_S19_NST_IJLi23ELi24EEEENST_IJLi25EEEEEEENST_IJLi23ELi25ELi24EEEElEENSB_INS5_IJSR_SP_SP_SR_SG_EEENS5_IJSU_SV_SW_SY_SX_EEENS5_IJNST_IJLi1ELi2EEEESX_SY_NST_IJLi5ELi6EEEES11_EEENST_IJLi5ELi7ELi6EEEElEENSB_INS5_IJSK_SP_SP_EEENS5_IJSU_SV_SW_EEENS5_IJS1P_SX_SY_EEENST_IJLi3ELi4EEEElEELi128ELi128ELi16ELi2ELi4ELi4ELi1ENST_IJLi8ELi2EEEES1Z_NST_IJLi8ELi1ELi1ELi2EEEENST_IJLi2ELi1ELi128ELi1EEEENST_IJLi1ELi2ELi0ELi3EEEES22_NST_IJLi4ELi1ELi1ELi2EEEES22_NST_IJLi1ELi1ELi1ELi2EEEES20_S21_S22_S22_S23_S22_S24_NST_IJLi0ELi1ELi2ELi3ELi4ELi5EEEELi5ELi4EEEDF16_NS5_IJPKDF16_EEEDF16_S8_S8_S9_NSB_INS5_IJSE_SG_SI_SI_SI_SG_SG_SK_SK_SK_SG_SN_SN_SP_SP_SR_SG_SG_NSQ_INS5_IJiNS_17integral_constantIiLi128EEEEEELb0EEENSF_INS2A_IiLi2EEEEEEEENS5_IJSU_SV_SW_SX_SY_SZ_S10_S11_S12_S13_S14_S15_S16_S17_S18_S19_S1A_NST_IJLi23EEEES1J_NST_IJLi24EEEEEEENS5_IJS1C_S10_S11_S12_S13_S14_S1D_S1E_S1F_S1G_S1H_S17_S18_S1A_S19_S1I_S1J_NST_IJLi26EEEENST_IJLi27ELi28EEEENST_IJLi29EEEEEEENST_IJLi26ELi27ELi28ELi29EEEElEENSB_INS5_IJSR_SP_SP_SR_SG_SG_S2D_S2F_EEENS5_IJSU_SV_SW_SY_SX_SZ_S11_S10_EEENS5_IJS1P_SX_SY_S1Q_S11_S12_NST_IJLi9ELi10EEEES1D_EEENST_IJLi8ELi9ELi10ELi11EEEElEENS5_IJNSB_INS5_IJSK_SP_SP_NSQ_INS5_IJiS2E_NS2A_IiLi64EEEEEELb0EEES2Y_EEENS5_IJSU_SV_SW_SX_SY_EEENS5_IJS1P_SX_SY_NST_IJLi5ELi6ELi7EEEENST_IJLi8ELi9ELi10EEEEEEENST_IJLi5ELi6ELi7ELi8ELi9ELi10EEEElEEEEES35_NS_31BlockToCTileMap_M00_N00_M01_N01ILi128ELi128ES1Y_Lb0EEENS1_30ComputePtrOffsetOfStridedBatchILi1ELi1ELi1EvEELb0ELb1EEEvPKT0_S3D_T1_PT2_T3_T4_T5_iT6_T7_T8_T9_T10_T11_
		.amdhsa_group_segment_fixed_size 32768
		.amdhsa_private_segment_fixed_size 0
		.amdhsa_kernarg_size 1024
		.amdhsa_user_sgpr_count 15
		.amdhsa_user_sgpr_dispatch_ptr 0
		.amdhsa_user_sgpr_queue_ptr 0
		.amdhsa_user_sgpr_kernarg_segment_ptr 1
		.amdhsa_user_sgpr_dispatch_id 0
		.amdhsa_user_sgpr_private_segment_size 0
		.amdhsa_wavefront_size32 1
		.amdhsa_uses_dynamic_stack 0
		.amdhsa_enable_private_segment 0
		.amdhsa_system_sgpr_workgroup_id_x 1
		.amdhsa_system_sgpr_workgroup_id_y 0
		.amdhsa_system_sgpr_workgroup_id_z 0
		.amdhsa_system_sgpr_workgroup_info 0
		.amdhsa_system_vgpr_workitem_id 0
		.amdhsa_next_free_vgpr 189
		.amdhsa_next_free_sgpr 73
		.amdhsa_reserve_vcc 1
		.amdhsa_float_round_mode_32 0
		.amdhsa_float_round_mode_16_64 0
		.amdhsa_float_denorm_mode_32 3
		.amdhsa_float_denorm_mode_16_64 3
		.amdhsa_dx10_clamp 1
		.amdhsa_ieee_mode 1
		.amdhsa_fp16_overflow 0
		.amdhsa_workgroup_processor_mode 1
		.amdhsa_memory_ordered 1
		.amdhsa_forward_progress 0
		.amdhsa_shared_vgpr_count 0
		.amdhsa_exception_fp_ieee_invalid_op 0
		.amdhsa_exception_fp_denorm_src 0
		.amdhsa_exception_fp_ieee_div_zero 0
		.amdhsa_exception_fp_ieee_overflow 0
		.amdhsa_exception_fp_ieee_underflow 0
		.amdhsa_exception_fp_ieee_inexact 0
		.amdhsa_exception_int_div_zero 0
	.end_amdhsa_kernel
	.section	.text._ZN2ck16tensor_operation6device12_GLOBAL__N_137kernel_grouped_conv_fwd_dl_multiple_dINS_32GridwiseGemmDlMultipleD_km_kn_mnILi256EDF16_fNS_5TupleIJDF16_EEEDF16_NS0_12element_wise11PassThroughES8_NS7_7AddReluELNS_25InMemoryDataOperationEnumE0ENS_16TensorDescriptorINS5_IJNS_5EmbedINS5_IJiiiiiEEESD_Lb0EEENS_11PassThroughIiEENS_3PadIiiiLb0EEESI_SI_SG_SG_NSC_INS5_IJiiEEESJ_Lb0EEESK_SK_SG_NS_23Merge_v2_magic_divisionINS5_IJiiiiEEEEESN_NS_8RightPadIiiLb0EEESP_NS_7UnMergeISJ_Lb0EEESG_EEENS5_IJNS_8SequenceIJLi0EEEENST_IJLi1EEEENST_IJLi2EEEENST_IJLi3EEEENST_IJLi4EEEENST_IJLi5EEEENST_IJLi6EEEENST_IJLi7EEEENST_IJLi8EEEENST_IJLi9EEEENST_IJLi10EEEENST_IJLi11ELi13ELi15ELi17EEEENST_IJLi12ELi14ELi16ELi18EEEENST_IJLi19EEEENST_IJLi20EEEENST_IJLi22EEEENST_IJLi21EEEEEEENS5_IJNST_IJLi1ELi2ELi3ELi4ELi5EEEES10_S11_S12_S13_S14_NST_IJLi11EEEENST_IJLi12ELi13EEEENST_IJLi14ELi15EEEENST_IJLi16ELi17EEEENST_IJLi18EEEES17_S18_S1A_S19_NST_IJLi23ELi24EEEENST_IJLi25EEEEEEENST_IJLi23ELi25ELi24EEEElEENSB_INS5_IJSR_SP_SP_SR_SG_EEENS5_IJSU_SV_SW_SY_SX_EEENS5_IJNST_IJLi1ELi2EEEESX_SY_NST_IJLi5ELi6EEEES11_EEENST_IJLi5ELi7ELi6EEEElEENSB_INS5_IJSK_SP_SP_EEENS5_IJSU_SV_SW_EEENS5_IJS1P_SX_SY_EEENST_IJLi3ELi4EEEElEELi128ELi128ELi16ELi2ELi4ELi4ELi1ENST_IJLi8ELi2EEEES1Z_NST_IJLi8ELi1ELi1ELi2EEEENST_IJLi2ELi1ELi128ELi1EEEENST_IJLi1ELi2ELi0ELi3EEEES22_NST_IJLi4ELi1ELi1ELi2EEEES22_NST_IJLi1ELi1ELi1ELi2EEEES20_S21_S22_S22_S23_S22_S24_NST_IJLi0ELi1ELi2ELi3ELi4ELi5EEEELi5ELi4EEEDF16_NS5_IJPKDF16_EEEDF16_S8_S8_S9_NSB_INS5_IJSE_SG_SI_SI_SI_SG_SG_SK_SK_SK_SG_SN_SN_SP_SP_SR_SG_SG_NSQ_INS5_IJiNS_17integral_constantIiLi128EEEEEELb0EEENSF_INS2A_IiLi2EEEEEEEENS5_IJSU_SV_SW_SX_SY_SZ_S10_S11_S12_S13_S14_S15_S16_S17_S18_S19_S1A_NST_IJLi23EEEES1J_NST_IJLi24EEEEEEENS5_IJS1C_S10_S11_S12_S13_S14_S1D_S1E_S1F_S1G_S1H_S17_S18_S1A_S19_S1I_S1J_NST_IJLi26EEEENST_IJLi27ELi28EEEENST_IJLi29EEEEEEENST_IJLi26ELi27ELi28ELi29EEEElEENSB_INS5_IJSR_SP_SP_SR_SG_SG_S2D_S2F_EEENS5_IJSU_SV_SW_SY_SX_SZ_S11_S10_EEENS5_IJS1P_SX_SY_S1Q_S11_S12_NST_IJLi9ELi10EEEES1D_EEENST_IJLi8ELi9ELi10ELi11EEEElEENS5_IJNSB_INS5_IJSK_SP_SP_NSQ_INS5_IJiS2E_NS2A_IiLi64EEEEEELb0EEES2Y_EEENS5_IJSU_SV_SW_SX_SY_EEENS5_IJS1P_SX_SY_NST_IJLi5ELi6ELi7EEEENST_IJLi8ELi9ELi10EEEEEEENST_IJLi5ELi6ELi7ELi8ELi9ELi10EEEElEEEEES35_NS_31BlockToCTileMap_M00_N00_M01_N01ILi128ELi128ES1Y_Lb0EEENS1_30ComputePtrOffsetOfStridedBatchILi1ELi1ELi1EvEELb0ELb1EEEvPKT0_S3D_T1_PT2_T3_T4_T5_iT6_T7_T8_T9_T10_T11_,"axG",@progbits,_ZN2ck16tensor_operation6device12_GLOBAL__N_137kernel_grouped_conv_fwd_dl_multiple_dINS_32GridwiseGemmDlMultipleD_km_kn_mnILi256EDF16_fNS_5TupleIJDF16_EEEDF16_NS0_12element_wise11PassThroughES8_NS7_7AddReluELNS_25InMemoryDataOperationEnumE0ENS_16TensorDescriptorINS5_IJNS_5EmbedINS5_IJiiiiiEEESD_Lb0EEENS_11PassThroughIiEENS_3PadIiiiLb0EEESI_SI_SG_SG_NSC_INS5_IJiiEEESJ_Lb0EEESK_SK_SG_NS_23Merge_v2_magic_divisionINS5_IJiiiiEEEEESN_NS_8RightPadIiiLb0EEESP_NS_7UnMergeISJ_Lb0EEESG_EEENS5_IJNS_8SequenceIJLi0EEEENST_IJLi1EEEENST_IJLi2EEEENST_IJLi3EEEENST_IJLi4EEEENST_IJLi5EEEENST_IJLi6EEEENST_IJLi7EEEENST_IJLi8EEEENST_IJLi9EEEENST_IJLi10EEEENST_IJLi11ELi13ELi15ELi17EEEENST_IJLi12ELi14ELi16ELi18EEEENST_IJLi19EEEENST_IJLi20EEEENST_IJLi22EEEENST_IJLi21EEEEEEENS5_IJNST_IJLi1ELi2ELi3ELi4ELi5EEEES10_S11_S12_S13_S14_NST_IJLi11EEEENST_IJLi12ELi13EEEENST_IJLi14ELi15EEEENST_IJLi16ELi17EEEENST_IJLi18EEEES17_S18_S1A_S19_NST_IJLi23ELi24EEEENST_IJLi25EEEEEEENST_IJLi23ELi25ELi24EEEElEENSB_INS5_IJSR_SP_SP_SR_SG_EEENS5_IJSU_SV_SW_SY_SX_EEENS5_IJNST_IJLi1ELi2EEEESX_SY_NST_IJLi5ELi6EEEES11_EEENST_IJLi5ELi7ELi6EEEElEENSB_INS5_IJSK_SP_SP_EEENS5_IJSU_SV_SW_EEENS5_IJS1P_SX_SY_EEENST_IJLi3ELi4EEEElEELi128ELi128ELi16ELi2ELi4ELi4ELi1ENST_IJLi8ELi2EEEES1Z_NST_IJLi8ELi1ELi1ELi2EEEENST_IJLi2ELi1ELi128ELi1EEEENST_IJLi1ELi2ELi0ELi3EEEES22_NST_IJLi4ELi1ELi1ELi2EEEES22_NST_IJLi1ELi1ELi1ELi2EEEES20_S21_S22_S22_S23_S22_S24_NST_IJLi0ELi1ELi2ELi3ELi4ELi5EEEELi5ELi4EEEDF16_NS5_IJPKDF16_EEEDF16_S8_S8_S9_NSB_INS5_IJSE_SG_SI_SI_SI_SG_SG_SK_SK_SK_SG_SN_SN_SP_SP_SR_SG_SG_NSQ_INS5_IJiNS_17integral_constantIiLi128EEEEEELb0EEENSF_INS2A_IiLi2EEEEEEEENS5_IJSU_SV_SW_SX_SY_SZ_S10_S11_S12_S13_S14_S15_S16_S17_S18_S19_S1A_NST_IJLi23EEEES1J_NST_IJLi24EEEEEEENS5_IJS1C_S10_S11_S12_S13_S14_S1D_S1E_S1F_S1G_S1H_S17_S18_S1A_S19_S1I_S1J_NST_IJLi26EEEENST_IJLi27ELi28EEEENST_IJLi29EEEEEEENST_IJLi26ELi27ELi28ELi29EEEElEENSB_INS5_IJSR_SP_SP_SR_SG_SG_S2D_S2F_EEENS5_IJSU_SV_SW_SY_SX_SZ_S11_S10_EEENS5_IJS1P_SX_SY_S1Q_S11_S12_NST_IJLi9ELi10EEEES1D_EEENST_IJLi8ELi9ELi10ELi11EEEElEENS5_IJNSB_INS5_IJSK_SP_SP_NSQ_INS5_IJiS2E_NS2A_IiLi64EEEEEELb0EEES2Y_EEENS5_IJSU_SV_SW_SX_SY_EEENS5_IJS1P_SX_SY_NST_IJLi5ELi6ELi7EEEENST_IJLi8ELi9ELi10EEEEEEENST_IJLi5ELi6ELi7ELi8ELi9ELi10EEEElEEEEES35_NS_31BlockToCTileMap_M00_N00_M01_N01ILi128ELi128ES1Y_Lb0EEENS1_30ComputePtrOffsetOfStridedBatchILi1ELi1ELi1EvEELb0ELb1EEEvPKT0_S3D_T1_PT2_T3_T4_T5_iT6_T7_T8_T9_T10_T11_,comdat
.Lfunc_end11:
	.size	_ZN2ck16tensor_operation6device12_GLOBAL__N_137kernel_grouped_conv_fwd_dl_multiple_dINS_32GridwiseGemmDlMultipleD_km_kn_mnILi256EDF16_fNS_5TupleIJDF16_EEEDF16_NS0_12element_wise11PassThroughES8_NS7_7AddReluELNS_25InMemoryDataOperationEnumE0ENS_16TensorDescriptorINS5_IJNS_5EmbedINS5_IJiiiiiEEESD_Lb0EEENS_11PassThroughIiEENS_3PadIiiiLb0EEESI_SI_SG_SG_NSC_INS5_IJiiEEESJ_Lb0EEESK_SK_SG_NS_23Merge_v2_magic_divisionINS5_IJiiiiEEEEESN_NS_8RightPadIiiLb0EEESP_NS_7UnMergeISJ_Lb0EEESG_EEENS5_IJNS_8SequenceIJLi0EEEENST_IJLi1EEEENST_IJLi2EEEENST_IJLi3EEEENST_IJLi4EEEENST_IJLi5EEEENST_IJLi6EEEENST_IJLi7EEEENST_IJLi8EEEENST_IJLi9EEEENST_IJLi10EEEENST_IJLi11ELi13ELi15ELi17EEEENST_IJLi12ELi14ELi16ELi18EEEENST_IJLi19EEEENST_IJLi20EEEENST_IJLi22EEEENST_IJLi21EEEEEEENS5_IJNST_IJLi1ELi2ELi3ELi4ELi5EEEES10_S11_S12_S13_S14_NST_IJLi11EEEENST_IJLi12ELi13EEEENST_IJLi14ELi15EEEENST_IJLi16ELi17EEEENST_IJLi18EEEES17_S18_S1A_S19_NST_IJLi23ELi24EEEENST_IJLi25EEEEEEENST_IJLi23ELi25ELi24EEEElEENSB_INS5_IJSR_SP_SP_SR_SG_EEENS5_IJSU_SV_SW_SY_SX_EEENS5_IJNST_IJLi1ELi2EEEESX_SY_NST_IJLi5ELi6EEEES11_EEENST_IJLi5ELi7ELi6EEEElEENSB_INS5_IJSK_SP_SP_EEENS5_IJSU_SV_SW_EEENS5_IJS1P_SX_SY_EEENST_IJLi3ELi4EEEElEELi128ELi128ELi16ELi2ELi4ELi4ELi1ENST_IJLi8ELi2EEEES1Z_NST_IJLi8ELi1ELi1ELi2EEEENST_IJLi2ELi1ELi128ELi1EEEENST_IJLi1ELi2ELi0ELi3EEEES22_NST_IJLi4ELi1ELi1ELi2EEEES22_NST_IJLi1ELi1ELi1ELi2EEEES20_S21_S22_S22_S23_S22_S24_NST_IJLi0ELi1ELi2ELi3ELi4ELi5EEEELi5ELi4EEEDF16_NS5_IJPKDF16_EEEDF16_S8_S8_S9_NSB_INS5_IJSE_SG_SI_SI_SI_SG_SG_SK_SK_SK_SG_SN_SN_SP_SP_SR_SG_SG_NSQ_INS5_IJiNS_17integral_constantIiLi128EEEEEELb0EEENSF_INS2A_IiLi2EEEEEEEENS5_IJSU_SV_SW_SX_SY_SZ_S10_S11_S12_S13_S14_S15_S16_S17_S18_S19_S1A_NST_IJLi23EEEES1J_NST_IJLi24EEEEEEENS5_IJS1C_S10_S11_S12_S13_S14_S1D_S1E_S1F_S1G_S1H_S17_S18_S1A_S19_S1I_S1J_NST_IJLi26EEEENST_IJLi27ELi28EEEENST_IJLi29EEEEEEENST_IJLi26ELi27ELi28ELi29EEEElEENSB_INS5_IJSR_SP_SP_SR_SG_SG_S2D_S2F_EEENS5_IJSU_SV_SW_SY_SX_SZ_S11_S10_EEENS5_IJS1P_SX_SY_S1Q_S11_S12_NST_IJLi9ELi10EEEES1D_EEENST_IJLi8ELi9ELi10ELi11EEEElEENS5_IJNSB_INS5_IJSK_SP_SP_NSQ_INS5_IJiS2E_NS2A_IiLi64EEEEEELb0EEES2Y_EEENS5_IJSU_SV_SW_SX_SY_EEENS5_IJS1P_SX_SY_NST_IJLi5ELi6ELi7EEEENST_IJLi8ELi9ELi10EEEEEEENST_IJLi5ELi6ELi7ELi8ELi9ELi10EEEElEEEEES35_NS_31BlockToCTileMap_M00_N00_M01_N01ILi128ELi128ES1Y_Lb0EEENS1_30ComputePtrOffsetOfStridedBatchILi1ELi1ELi1EvEELb0ELb1EEEvPKT0_S3D_T1_PT2_T3_T4_T5_iT6_T7_T8_T9_T10_T11_, .Lfunc_end11-_ZN2ck16tensor_operation6device12_GLOBAL__N_137kernel_grouped_conv_fwd_dl_multiple_dINS_32GridwiseGemmDlMultipleD_km_kn_mnILi256EDF16_fNS_5TupleIJDF16_EEEDF16_NS0_12element_wise11PassThroughES8_NS7_7AddReluELNS_25InMemoryDataOperationEnumE0ENS_16TensorDescriptorINS5_IJNS_5EmbedINS5_IJiiiiiEEESD_Lb0EEENS_11PassThroughIiEENS_3PadIiiiLb0EEESI_SI_SG_SG_NSC_INS5_IJiiEEESJ_Lb0EEESK_SK_SG_NS_23Merge_v2_magic_divisionINS5_IJiiiiEEEEESN_NS_8RightPadIiiLb0EEESP_NS_7UnMergeISJ_Lb0EEESG_EEENS5_IJNS_8SequenceIJLi0EEEENST_IJLi1EEEENST_IJLi2EEEENST_IJLi3EEEENST_IJLi4EEEENST_IJLi5EEEENST_IJLi6EEEENST_IJLi7EEEENST_IJLi8EEEENST_IJLi9EEEENST_IJLi10EEEENST_IJLi11ELi13ELi15ELi17EEEENST_IJLi12ELi14ELi16ELi18EEEENST_IJLi19EEEENST_IJLi20EEEENST_IJLi22EEEENST_IJLi21EEEEEEENS5_IJNST_IJLi1ELi2ELi3ELi4ELi5EEEES10_S11_S12_S13_S14_NST_IJLi11EEEENST_IJLi12ELi13EEEENST_IJLi14ELi15EEEENST_IJLi16ELi17EEEENST_IJLi18EEEES17_S18_S1A_S19_NST_IJLi23ELi24EEEENST_IJLi25EEEEEEENST_IJLi23ELi25ELi24EEEElEENSB_INS5_IJSR_SP_SP_SR_SG_EEENS5_IJSU_SV_SW_SY_SX_EEENS5_IJNST_IJLi1ELi2EEEESX_SY_NST_IJLi5ELi6EEEES11_EEENST_IJLi5ELi7ELi6EEEElEENSB_INS5_IJSK_SP_SP_EEENS5_IJSU_SV_SW_EEENS5_IJS1P_SX_SY_EEENST_IJLi3ELi4EEEElEELi128ELi128ELi16ELi2ELi4ELi4ELi1ENST_IJLi8ELi2EEEES1Z_NST_IJLi8ELi1ELi1ELi2EEEENST_IJLi2ELi1ELi128ELi1EEEENST_IJLi1ELi2ELi0ELi3EEEES22_NST_IJLi4ELi1ELi1ELi2EEEES22_NST_IJLi1ELi1ELi1ELi2EEEES20_S21_S22_S22_S23_S22_S24_NST_IJLi0ELi1ELi2ELi3ELi4ELi5EEEELi5ELi4EEEDF16_NS5_IJPKDF16_EEEDF16_S8_S8_S9_NSB_INS5_IJSE_SG_SI_SI_SI_SG_SG_SK_SK_SK_SG_SN_SN_SP_SP_SR_SG_SG_NSQ_INS5_IJiNS_17integral_constantIiLi128EEEEEELb0EEENSF_INS2A_IiLi2EEEEEEEENS5_IJSU_SV_SW_SX_SY_SZ_S10_S11_S12_S13_S14_S15_S16_S17_S18_S19_S1A_NST_IJLi23EEEES1J_NST_IJLi24EEEEEEENS5_IJS1C_S10_S11_S12_S13_S14_S1D_S1E_S1F_S1G_S1H_S17_S18_S1A_S19_S1I_S1J_NST_IJLi26EEEENST_IJLi27ELi28EEEENST_IJLi29EEEEEEENST_IJLi26ELi27ELi28ELi29EEEElEENSB_INS5_IJSR_SP_SP_SR_SG_SG_S2D_S2F_EEENS5_IJSU_SV_SW_SY_SX_SZ_S11_S10_EEENS5_IJS1P_SX_SY_S1Q_S11_S12_NST_IJLi9ELi10EEEES1D_EEENST_IJLi8ELi9ELi10ELi11EEEElEENS5_IJNSB_INS5_IJSK_SP_SP_NSQ_INS5_IJiS2E_NS2A_IiLi64EEEEEELb0EEES2Y_EEENS5_IJSU_SV_SW_SX_SY_EEENS5_IJS1P_SX_SY_NST_IJLi5ELi6ELi7EEEENST_IJLi8ELi9ELi10EEEEEEENST_IJLi5ELi6ELi7ELi8ELi9ELi10EEEElEEEEES35_NS_31BlockToCTileMap_M00_N00_M01_N01ILi128ELi128ES1Y_Lb0EEENS1_30ComputePtrOffsetOfStridedBatchILi1ELi1ELi1EvEELb0ELb1EEEvPKT0_S3D_T1_PT2_T3_T4_T5_iT6_T7_T8_T9_T10_T11_
                                        ; -- End function
	.section	.AMDGPU.csdata,"",@progbits
; Kernel info:
; codeLenInByte = 15580
; NumSgprs: 75
; NumVgprs: 189
; ScratchSize: 0
; MemoryBound: 0
; FloatMode: 240
; IeeeMode: 1
; LDSByteSize: 32768 bytes/workgroup (compile time only)
; SGPRBlocks: 9
; VGPRBlocks: 23
; NumSGPRsForWavesPerEU: 75
; NumVGPRsForWavesPerEU: 189
; Occupancy: 8
; WaveLimiterHint : 0
; COMPUTE_PGM_RSRC2:SCRATCH_EN: 0
; COMPUTE_PGM_RSRC2:USER_SGPR: 15
; COMPUTE_PGM_RSRC2:TRAP_HANDLER: 0
; COMPUTE_PGM_RSRC2:TGID_X_EN: 1
; COMPUTE_PGM_RSRC2:TGID_Y_EN: 0
; COMPUTE_PGM_RSRC2:TGID_Z_EN: 0
; COMPUTE_PGM_RSRC2:TIDIG_COMP_CNT: 0
	.section	.text._ZN2ck16tensor_operation6device12_GLOBAL__N_137kernel_grouped_conv_fwd_dl_multiple_dINS_32GridwiseGemmDlMultipleD_km_kn_mnILi256EDF16_fNS_5TupleIJDF16_EEEDF16_NS0_12element_wise11PassThroughES8_NS7_7AddReluELNS_25InMemoryDataOperationEnumE0ENS_16TensorDescriptorINS5_IJNS_5EmbedINS5_IJiiiiiEEESD_Lb0EEENS_11PassThroughIiEENS_3PadIiiiLb0EEESI_SI_SG_SG_NSC_INS5_IJiiEEESJ_Lb0EEESK_SK_SG_NS_23Merge_v2_magic_divisionINS5_IJiiiiEEEEESN_NS_8RightPadIiiLb0EEESP_NS_7UnMergeISJ_Lb0EEESG_EEENS5_IJNS_8SequenceIJLi0EEEENST_IJLi1EEEENST_IJLi2EEEENST_IJLi3EEEENST_IJLi4EEEENST_IJLi5EEEENST_IJLi6EEEENST_IJLi7EEEENST_IJLi8EEEENST_IJLi9EEEENST_IJLi10EEEENST_IJLi11ELi13ELi15ELi17EEEENST_IJLi12ELi14ELi16ELi18EEEENST_IJLi19EEEENST_IJLi20EEEENST_IJLi22EEEENST_IJLi21EEEEEEENS5_IJNST_IJLi1ELi2ELi3ELi4ELi5EEEES10_S11_S12_S13_S14_NST_IJLi11EEEENST_IJLi12ELi13EEEENST_IJLi14ELi15EEEENST_IJLi16ELi17EEEENST_IJLi18EEEES17_S18_S1A_S19_NST_IJLi23ELi24EEEENST_IJLi25EEEEEEENST_IJLi23ELi25ELi24EEEElEENSB_INS5_IJSR_SP_SP_SR_SG_EEENS5_IJSU_SV_SW_SY_SX_EEENS5_IJNST_IJLi1ELi2EEEESX_SY_NST_IJLi5ELi6EEEES11_EEENST_IJLi5ELi7ELi6EEEElEENSB_INS5_IJSK_SP_SP_EEENS5_IJSU_SV_SW_EEENS5_IJS1P_SX_SY_EEENST_IJLi3ELi4EEEElEELi128ELi128ELi16ELi2ELi4ELi4ELi1ENST_IJLi8ELi2EEEES1Z_NST_IJLi8ELi1ELi1ELi2EEEENST_IJLi2ELi1ELi128ELi1EEEENST_IJLi1ELi2ELi0ELi3EEEES22_NST_IJLi4ELi1ELi1ELi2EEEES22_NST_IJLi1ELi1ELi1ELi2EEEES20_S21_S22_S22_S23_S22_S24_NST_IJLi0ELi1ELi2ELi3ELi4ELi5EEEELi5ELi4EEEDF16_NS5_IJPKDF16_EEEDF16_S8_S8_S9_NSB_INS5_IJSE_SG_SI_SI_SI_SG_SG_SK_SK_SK_SG_SN_SN_SP_SP_SR_SG_SG_NSQ_INS5_IJiNS_17integral_constantIiLi128EEEEEELb0EEENSF_INS2A_IiLi2EEEEEEEENS5_IJSU_SV_SW_SX_SY_SZ_S10_S11_S12_S13_S14_S15_S16_S17_S18_S19_S1A_NST_IJLi23EEEES1J_NST_IJLi24EEEEEEENS5_IJS1C_S10_S11_S12_S13_S14_S1D_S1E_S1F_S1G_S1H_S17_S18_S1A_S19_S1I_S1J_NST_IJLi26EEEENST_IJLi27ELi28EEEENST_IJLi29EEEEEEENST_IJLi26ELi27ELi28ELi29EEEElEENSB_INS5_IJSR_SP_SP_SR_SG_SG_S2D_S2F_EEENS5_IJSU_SV_SW_SY_SX_SZ_S11_S10_EEENS5_IJS1P_SX_SY_S1Q_S11_S12_NST_IJLi9ELi10EEEES1D_EEENST_IJLi8ELi9ELi10ELi11EEEElEENS5_IJNSB_INS5_IJSK_SP_SP_NSQ_INS5_IJiS2E_NS2A_IiLi64EEEEEELb0EEES2Y_EEENS5_IJSU_SV_SW_SX_SY_EEENS5_IJS1P_SX_SY_NST_IJLi5ELi6ELi7EEEENST_IJLi8ELi9ELi10EEEEEEENST_IJLi5ELi6ELi7ELi8ELi9ELi10EEEElEEEEES35_NS_31BlockToCTileMap_M00_N00_M01_N01ILi128ELi128ES1Y_Lb0EEENS1_30ComputePtrOffsetOfStridedBatchILi1ELi1ELi1EvEELb0ELb0EEEvPKT0_S3D_T1_PT2_T3_T4_T5_iT6_T7_T8_T9_T10_T11_,"axG",@progbits,_ZN2ck16tensor_operation6device12_GLOBAL__N_137kernel_grouped_conv_fwd_dl_multiple_dINS_32GridwiseGemmDlMultipleD_km_kn_mnILi256EDF16_fNS_5TupleIJDF16_EEEDF16_NS0_12element_wise11PassThroughES8_NS7_7AddReluELNS_25InMemoryDataOperationEnumE0ENS_16TensorDescriptorINS5_IJNS_5EmbedINS5_IJiiiiiEEESD_Lb0EEENS_11PassThroughIiEENS_3PadIiiiLb0EEESI_SI_SG_SG_NSC_INS5_IJiiEEESJ_Lb0EEESK_SK_SG_NS_23Merge_v2_magic_divisionINS5_IJiiiiEEEEESN_NS_8RightPadIiiLb0EEESP_NS_7UnMergeISJ_Lb0EEESG_EEENS5_IJNS_8SequenceIJLi0EEEENST_IJLi1EEEENST_IJLi2EEEENST_IJLi3EEEENST_IJLi4EEEENST_IJLi5EEEENST_IJLi6EEEENST_IJLi7EEEENST_IJLi8EEEENST_IJLi9EEEENST_IJLi10EEEENST_IJLi11ELi13ELi15ELi17EEEENST_IJLi12ELi14ELi16ELi18EEEENST_IJLi19EEEENST_IJLi20EEEENST_IJLi22EEEENST_IJLi21EEEEEEENS5_IJNST_IJLi1ELi2ELi3ELi4ELi5EEEES10_S11_S12_S13_S14_NST_IJLi11EEEENST_IJLi12ELi13EEEENST_IJLi14ELi15EEEENST_IJLi16ELi17EEEENST_IJLi18EEEES17_S18_S1A_S19_NST_IJLi23ELi24EEEENST_IJLi25EEEEEEENST_IJLi23ELi25ELi24EEEElEENSB_INS5_IJSR_SP_SP_SR_SG_EEENS5_IJSU_SV_SW_SY_SX_EEENS5_IJNST_IJLi1ELi2EEEESX_SY_NST_IJLi5ELi6EEEES11_EEENST_IJLi5ELi7ELi6EEEElEENSB_INS5_IJSK_SP_SP_EEENS5_IJSU_SV_SW_EEENS5_IJS1P_SX_SY_EEENST_IJLi3ELi4EEEElEELi128ELi128ELi16ELi2ELi4ELi4ELi1ENST_IJLi8ELi2EEEES1Z_NST_IJLi8ELi1ELi1ELi2EEEENST_IJLi2ELi1ELi128ELi1EEEENST_IJLi1ELi2ELi0ELi3EEEES22_NST_IJLi4ELi1ELi1ELi2EEEES22_NST_IJLi1ELi1ELi1ELi2EEEES20_S21_S22_S22_S23_S22_S24_NST_IJLi0ELi1ELi2ELi3ELi4ELi5EEEELi5ELi4EEEDF16_NS5_IJPKDF16_EEEDF16_S8_S8_S9_NSB_INS5_IJSE_SG_SI_SI_SI_SG_SG_SK_SK_SK_SG_SN_SN_SP_SP_SR_SG_SG_NSQ_INS5_IJiNS_17integral_constantIiLi128EEEEEELb0EEENSF_INS2A_IiLi2EEEEEEEENS5_IJSU_SV_SW_SX_SY_SZ_S10_S11_S12_S13_S14_S15_S16_S17_S18_S19_S1A_NST_IJLi23EEEES1J_NST_IJLi24EEEEEEENS5_IJS1C_S10_S11_S12_S13_S14_S1D_S1E_S1F_S1G_S1H_S17_S18_S1A_S19_S1I_S1J_NST_IJLi26EEEENST_IJLi27ELi28EEEENST_IJLi29EEEEEEENST_IJLi26ELi27ELi28ELi29EEEElEENSB_INS5_IJSR_SP_SP_SR_SG_SG_S2D_S2F_EEENS5_IJSU_SV_SW_SY_SX_SZ_S11_S10_EEENS5_IJS1P_SX_SY_S1Q_S11_S12_NST_IJLi9ELi10EEEES1D_EEENST_IJLi8ELi9ELi10ELi11EEEElEENS5_IJNSB_INS5_IJSK_SP_SP_NSQ_INS5_IJiS2E_NS2A_IiLi64EEEEEELb0EEES2Y_EEENS5_IJSU_SV_SW_SX_SY_EEENS5_IJS1P_SX_SY_NST_IJLi5ELi6ELi7EEEENST_IJLi8ELi9ELi10EEEEEEENST_IJLi5ELi6ELi7ELi8ELi9ELi10EEEElEEEEES35_NS_31BlockToCTileMap_M00_N00_M01_N01ILi128ELi128ES1Y_Lb0EEENS1_30ComputePtrOffsetOfStridedBatchILi1ELi1ELi1EvEELb0ELb0EEEvPKT0_S3D_T1_PT2_T3_T4_T5_iT6_T7_T8_T9_T10_T11_,comdat
	.globl	_ZN2ck16tensor_operation6device12_GLOBAL__N_137kernel_grouped_conv_fwd_dl_multiple_dINS_32GridwiseGemmDlMultipleD_km_kn_mnILi256EDF16_fNS_5TupleIJDF16_EEEDF16_NS0_12element_wise11PassThroughES8_NS7_7AddReluELNS_25InMemoryDataOperationEnumE0ENS_16TensorDescriptorINS5_IJNS_5EmbedINS5_IJiiiiiEEESD_Lb0EEENS_11PassThroughIiEENS_3PadIiiiLb0EEESI_SI_SG_SG_NSC_INS5_IJiiEEESJ_Lb0EEESK_SK_SG_NS_23Merge_v2_magic_divisionINS5_IJiiiiEEEEESN_NS_8RightPadIiiLb0EEESP_NS_7UnMergeISJ_Lb0EEESG_EEENS5_IJNS_8SequenceIJLi0EEEENST_IJLi1EEEENST_IJLi2EEEENST_IJLi3EEEENST_IJLi4EEEENST_IJLi5EEEENST_IJLi6EEEENST_IJLi7EEEENST_IJLi8EEEENST_IJLi9EEEENST_IJLi10EEEENST_IJLi11ELi13ELi15ELi17EEEENST_IJLi12ELi14ELi16ELi18EEEENST_IJLi19EEEENST_IJLi20EEEENST_IJLi22EEEENST_IJLi21EEEEEEENS5_IJNST_IJLi1ELi2ELi3ELi4ELi5EEEES10_S11_S12_S13_S14_NST_IJLi11EEEENST_IJLi12ELi13EEEENST_IJLi14ELi15EEEENST_IJLi16ELi17EEEENST_IJLi18EEEES17_S18_S1A_S19_NST_IJLi23ELi24EEEENST_IJLi25EEEEEEENST_IJLi23ELi25ELi24EEEElEENSB_INS5_IJSR_SP_SP_SR_SG_EEENS5_IJSU_SV_SW_SY_SX_EEENS5_IJNST_IJLi1ELi2EEEESX_SY_NST_IJLi5ELi6EEEES11_EEENST_IJLi5ELi7ELi6EEEElEENSB_INS5_IJSK_SP_SP_EEENS5_IJSU_SV_SW_EEENS5_IJS1P_SX_SY_EEENST_IJLi3ELi4EEEElEELi128ELi128ELi16ELi2ELi4ELi4ELi1ENST_IJLi8ELi2EEEES1Z_NST_IJLi8ELi1ELi1ELi2EEEENST_IJLi2ELi1ELi128ELi1EEEENST_IJLi1ELi2ELi0ELi3EEEES22_NST_IJLi4ELi1ELi1ELi2EEEES22_NST_IJLi1ELi1ELi1ELi2EEEES20_S21_S22_S22_S23_S22_S24_NST_IJLi0ELi1ELi2ELi3ELi4ELi5EEEELi5ELi4EEEDF16_NS5_IJPKDF16_EEEDF16_S8_S8_S9_NSB_INS5_IJSE_SG_SI_SI_SI_SG_SG_SK_SK_SK_SG_SN_SN_SP_SP_SR_SG_SG_NSQ_INS5_IJiNS_17integral_constantIiLi128EEEEEELb0EEENSF_INS2A_IiLi2EEEEEEEENS5_IJSU_SV_SW_SX_SY_SZ_S10_S11_S12_S13_S14_S15_S16_S17_S18_S19_S1A_NST_IJLi23EEEES1J_NST_IJLi24EEEEEEENS5_IJS1C_S10_S11_S12_S13_S14_S1D_S1E_S1F_S1G_S1H_S17_S18_S1A_S19_S1I_S1J_NST_IJLi26EEEENST_IJLi27ELi28EEEENST_IJLi29EEEEEEENST_IJLi26ELi27ELi28ELi29EEEElEENSB_INS5_IJSR_SP_SP_SR_SG_SG_S2D_S2F_EEENS5_IJSU_SV_SW_SY_SX_SZ_S11_S10_EEENS5_IJS1P_SX_SY_S1Q_S11_S12_NST_IJLi9ELi10EEEES1D_EEENST_IJLi8ELi9ELi10ELi11EEEElEENS5_IJNSB_INS5_IJSK_SP_SP_NSQ_INS5_IJiS2E_NS2A_IiLi64EEEEEELb0EEES2Y_EEENS5_IJSU_SV_SW_SX_SY_EEENS5_IJS1P_SX_SY_NST_IJLi5ELi6ELi7EEEENST_IJLi8ELi9ELi10EEEEEEENST_IJLi5ELi6ELi7ELi8ELi9ELi10EEEElEEEEES35_NS_31BlockToCTileMap_M00_N00_M01_N01ILi128ELi128ES1Y_Lb0EEENS1_30ComputePtrOffsetOfStridedBatchILi1ELi1ELi1EvEELb0ELb0EEEvPKT0_S3D_T1_PT2_T3_T4_T5_iT6_T7_T8_T9_T10_T11_ ; -- Begin function _ZN2ck16tensor_operation6device12_GLOBAL__N_137kernel_grouped_conv_fwd_dl_multiple_dINS_32GridwiseGemmDlMultipleD_km_kn_mnILi256EDF16_fNS_5TupleIJDF16_EEEDF16_NS0_12element_wise11PassThroughES8_NS7_7AddReluELNS_25InMemoryDataOperationEnumE0ENS_16TensorDescriptorINS5_IJNS_5EmbedINS5_IJiiiiiEEESD_Lb0EEENS_11PassThroughIiEENS_3PadIiiiLb0EEESI_SI_SG_SG_NSC_INS5_IJiiEEESJ_Lb0EEESK_SK_SG_NS_23Merge_v2_magic_divisionINS5_IJiiiiEEEEESN_NS_8RightPadIiiLb0EEESP_NS_7UnMergeISJ_Lb0EEESG_EEENS5_IJNS_8SequenceIJLi0EEEENST_IJLi1EEEENST_IJLi2EEEENST_IJLi3EEEENST_IJLi4EEEENST_IJLi5EEEENST_IJLi6EEEENST_IJLi7EEEENST_IJLi8EEEENST_IJLi9EEEENST_IJLi10EEEENST_IJLi11ELi13ELi15ELi17EEEENST_IJLi12ELi14ELi16ELi18EEEENST_IJLi19EEEENST_IJLi20EEEENST_IJLi22EEEENST_IJLi21EEEEEEENS5_IJNST_IJLi1ELi2ELi3ELi4ELi5EEEES10_S11_S12_S13_S14_NST_IJLi11EEEENST_IJLi12ELi13EEEENST_IJLi14ELi15EEEENST_IJLi16ELi17EEEENST_IJLi18EEEES17_S18_S1A_S19_NST_IJLi23ELi24EEEENST_IJLi25EEEEEEENST_IJLi23ELi25ELi24EEEElEENSB_INS5_IJSR_SP_SP_SR_SG_EEENS5_IJSU_SV_SW_SY_SX_EEENS5_IJNST_IJLi1ELi2EEEESX_SY_NST_IJLi5ELi6EEEES11_EEENST_IJLi5ELi7ELi6EEEElEENSB_INS5_IJSK_SP_SP_EEENS5_IJSU_SV_SW_EEENS5_IJS1P_SX_SY_EEENST_IJLi3ELi4EEEElEELi128ELi128ELi16ELi2ELi4ELi4ELi1ENST_IJLi8ELi2EEEES1Z_NST_IJLi8ELi1ELi1ELi2EEEENST_IJLi2ELi1ELi128ELi1EEEENST_IJLi1ELi2ELi0ELi3EEEES22_NST_IJLi4ELi1ELi1ELi2EEEES22_NST_IJLi1ELi1ELi1ELi2EEEES20_S21_S22_S22_S23_S22_S24_NST_IJLi0ELi1ELi2ELi3ELi4ELi5EEEELi5ELi4EEEDF16_NS5_IJPKDF16_EEEDF16_S8_S8_S9_NSB_INS5_IJSE_SG_SI_SI_SI_SG_SG_SK_SK_SK_SG_SN_SN_SP_SP_SR_SG_SG_NSQ_INS5_IJiNS_17integral_constantIiLi128EEEEEELb0EEENSF_INS2A_IiLi2EEEEEEEENS5_IJSU_SV_SW_SX_SY_SZ_S10_S11_S12_S13_S14_S15_S16_S17_S18_S19_S1A_NST_IJLi23EEEES1J_NST_IJLi24EEEEEEENS5_IJS1C_S10_S11_S12_S13_S14_S1D_S1E_S1F_S1G_S1H_S17_S18_S1A_S19_S1I_S1J_NST_IJLi26EEEENST_IJLi27ELi28EEEENST_IJLi29EEEEEEENST_IJLi26ELi27ELi28ELi29EEEElEENSB_INS5_IJSR_SP_SP_SR_SG_SG_S2D_S2F_EEENS5_IJSU_SV_SW_SY_SX_SZ_S11_S10_EEENS5_IJS1P_SX_SY_S1Q_S11_S12_NST_IJLi9ELi10EEEES1D_EEENST_IJLi8ELi9ELi10ELi11EEEElEENS5_IJNSB_INS5_IJSK_SP_SP_NSQ_INS5_IJiS2E_NS2A_IiLi64EEEEEELb0EEES2Y_EEENS5_IJSU_SV_SW_SX_SY_EEENS5_IJS1P_SX_SY_NST_IJLi5ELi6ELi7EEEENST_IJLi8ELi9ELi10EEEEEEENST_IJLi5ELi6ELi7ELi8ELi9ELi10EEEElEEEEES35_NS_31BlockToCTileMap_M00_N00_M01_N01ILi128ELi128ES1Y_Lb0EEENS1_30ComputePtrOffsetOfStridedBatchILi1ELi1ELi1EvEELb0ELb0EEEvPKT0_S3D_T1_PT2_T3_T4_T5_iT6_T7_T8_T9_T10_T11_
	.p2align	8
	.type	_ZN2ck16tensor_operation6device12_GLOBAL__N_137kernel_grouped_conv_fwd_dl_multiple_dINS_32GridwiseGemmDlMultipleD_km_kn_mnILi256EDF16_fNS_5TupleIJDF16_EEEDF16_NS0_12element_wise11PassThroughES8_NS7_7AddReluELNS_25InMemoryDataOperationEnumE0ENS_16TensorDescriptorINS5_IJNS_5EmbedINS5_IJiiiiiEEESD_Lb0EEENS_11PassThroughIiEENS_3PadIiiiLb0EEESI_SI_SG_SG_NSC_INS5_IJiiEEESJ_Lb0EEESK_SK_SG_NS_23Merge_v2_magic_divisionINS5_IJiiiiEEEEESN_NS_8RightPadIiiLb0EEESP_NS_7UnMergeISJ_Lb0EEESG_EEENS5_IJNS_8SequenceIJLi0EEEENST_IJLi1EEEENST_IJLi2EEEENST_IJLi3EEEENST_IJLi4EEEENST_IJLi5EEEENST_IJLi6EEEENST_IJLi7EEEENST_IJLi8EEEENST_IJLi9EEEENST_IJLi10EEEENST_IJLi11ELi13ELi15ELi17EEEENST_IJLi12ELi14ELi16ELi18EEEENST_IJLi19EEEENST_IJLi20EEEENST_IJLi22EEEENST_IJLi21EEEEEEENS5_IJNST_IJLi1ELi2ELi3ELi4ELi5EEEES10_S11_S12_S13_S14_NST_IJLi11EEEENST_IJLi12ELi13EEEENST_IJLi14ELi15EEEENST_IJLi16ELi17EEEENST_IJLi18EEEES17_S18_S1A_S19_NST_IJLi23ELi24EEEENST_IJLi25EEEEEEENST_IJLi23ELi25ELi24EEEElEENSB_INS5_IJSR_SP_SP_SR_SG_EEENS5_IJSU_SV_SW_SY_SX_EEENS5_IJNST_IJLi1ELi2EEEESX_SY_NST_IJLi5ELi6EEEES11_EEENST_IJLi5ELi7ELi6EEEElEENSB_INS5_IJSK_SP_SP_EEENS5_IJSU_SV_SW_EEENS5_IJS1P_SX_SY_EEENST_IJLi3ELi4EEEElEELi128ELi128ELi16ELi2ELi4ELi4ELi1ENST_IJLi8ELi2EEEES1Z_NST_IJLi8ELi1ELi1ELi2EEEENST_IJLi2ELi1ELi128ELi1EEEENST_IJLi1ELi2ELi0ELi3EEEES22_NST_IJLi4ELi1ELi1ELi2EEEES22_NST_IJLi1ELi1ELi1ELi2EEEES20_S21_S22_S22_S23_S22_S24_NST_IJLi0ELi1ELi2ELi3ELi4ELi5EEEELi5ELi4EEEDF16_NS5_IJPKDF16_EEEDF16_S8_S8_S9_NSB_INS5_IJSE_SG_SI_SI_SI_SG_SG_SK_SK_SK_SG_SN_SN_SP_SP_SR_SG_SG_NSQ_INS5_IJiNS_17integral_constantIiLi128EEEEEELb0EEENSF_INS2A_IiLi2EEEEEEEENS5_IJSU_SV_SW_SX_SY_SZ_S10_S11_S12_S13_S14_S15_S16_S17_S18_S19_S1A_NST_IJLi23EEEES1J_NST_IJLi24EEEEEEENS5_IJS1C_S10_S11_S12_S13_S14_S1D_S1E_S1F_S1G_S1H_S17_S18_S1A_S19_S1I_S1J_NST_IJLi26EEEENST_IJLi27ELi28EEEENST_IJLi29EEEEEEENST_IJLi26ELi27ELi28ELi29EEEElEENSB_INS5_IJSR_SP_SP_SR_SG_SG_S2D_S2F_EEENS5_IJSU_SV_SW_SY_SX_SZ_S11_S10_EEENS5_IJS1P_SX_SY_S1Q_S11_S12_NST_IJLi9ELi10EEEES1D_EEENST_IJLi8ELi9ELi10ELi11EEEElEENS5_IJNSB_INS5_IJSK_SP_SP_NSQ_INS5_IJiS2E_NS2A_IiLi64EEEEEELb0EEES2Y_EEENS5_IJSU_SV_SW_SX_SY_EEENS5_IJS1P_SX_SY_NST_IJLi5ELi6ELi7EEEENST_IJLi8ELi9ELi10EEEEEEENST_IJLi5ELi6ELi7ELi8ELi9ELi10EEEElEEEEES35_NS_31BlockToCTileMap_M00_N00_M01_N01ILi128ELi128ES1Y_Lb0EEENS1_30ComputePtrOffsetOfStridedBatchILi1ELi1ELi1EvEELb0ELb0EEEvPKT0_S3D_T1_PT2_T3_T4_T5_iT6_T7_T8_T9_T10_T11_,@function
_ZN2ck16tensor_operation6device12_GLOBAL__N_137kernel_grouped_conv_fwd_dl_multiple_dINS_32GridwiseGemmDlMultipleD_km_kn_mnILi256EDF16_fNS_5TupleIJDF16_EEEDF16_NS0_12element_wise11PassThroughES8_NS7_7AddReluELNS_25InMemoryDataOperationEnumE0ENS_16TensorDescriptorINS5_IJNS_5EmbedINS5_IJiiiiiEEESD_Lb0EEENS_11PassThroughIiEENS_3PadIiiiLb0EEESI_SI_SG_SG_NSC_INS5_IJiiEEESJ_Lb0EEESK_SK_SG_NS_23Merge_v2_magic_divisionINS5_IJiiiiEEEEESN_NS_8RightPadIiiLb0EEESP_NS_7UnMergeISJ_Lb0EEESG_EEENS5_IJNS_8SequenceIJLi0EEEENST_IJLi1EEEENST_IJLi2EEEENST_IJLi3EEEENST_IJLi4EEEENST_IJLi5EEEENST_IJLi6EEEENST_IJLi7EEEENST_IJLi8EEEENST_IJLi9EEEENST_IJLi10EEEENST_IJLi11ELi13ELi15ELi17EEEENST_IJLi12ELi14ELi16ELi18EEEENST_IJLi19EEEENST_IJLi20EEEENST_IJLi22EEEENST_IJLi21EEEEEEENS5_IJNST_IJLi1ELi2ELi3ELi4ELi5EEEES10_S11_S12_S13_S14_NST_IJLi11EEEENST_IJLi12ELi13EEEENST_IJLi14ELi15EEEENST_IJLi16ELi17EEEENST_IJLi18EEEES17_S18_S1A_S19_NST_IJLi23ELi24EEEENST_IJLi25EEEEEEENST_IJLi23ELi25ELi24EEEElEENSB_INS5_IJSR_SP_SP_SR_SG_EEENS5_IJSU_SV_SW_SY_SX_EEENS5_IJNST_IJLi1ELi2EEEESX_SY_NST_IJLi5ELi6EEEES11_EEENST_IJLi5ELi7ELi6EEEElEENSB_INS5_IJSK_SP_SP_EEENS5_IJSU_SV_SW_EEENS5_IJS1P_SX_SY_EEENST_IJLi3ELi4EEEElEELi128ELi128ELi16ELi2ELi4ELi4ELi1ENST_IJLi8ELi2EEEES1Z_NST_IJLi8ELi1ELi1ELi2EEEENST_IJLi2ELi1ELi128ELi1EEEENST_IJLi1ELi2ELi0ELi3EEEES22_NST_IJLi4ELi1ELi1ELi2EEEES22_NST_IJLi1ELi1ELi1ELi2EEEES20_S21_S22_S22_S23_S22_S24_NST_IJLi0ELi1ELi2ELi3ELi4ELi5EEEELi5ELi4EEEDF16_NS5_IJPKDF16_EEEDF16_S8_S8_S9_NSB_INS5_IJSE_SG_SI_SI_SI_SG_SG_SK_SK_SK_SG_SN_SN_SP_SP_SR_SG_SG_NSQ_INS5_IJiNS_17integral_constantIiLi128EEEEEELb0EEENSF_INS2A_IiLi2EEEEEEEENS5_IJSU_SV_SW_SX_SY_SZ_S10_S11_S12_S13_S14_S15_S16_S17_S18_S19_S1A_NST_IJLi23EEEES1J_NST_IJLi24EEEEEEENS5_IJS1C_S10_S11_S12_S13_S14_S1D_S1E_S1F_S1G_S1H_S17_S18_S1A_S19_S1I_S1J_NST_IJLi26EEEENST_IJLi27ELi28EEEENST_IJLi29EEEEEEENST_IJLi26ELi27ELi28ELi29EEEElEENSB_INS5_IJSR_SP_SP_SR_SG_SG_S2D_S2F_EEENS5_IJSU_SV_SW_SY_SX_SZ_S11_S10_EEENS5_IJS1P_SX_SY_S1Q_S11_S12_NST_IJLi9ELi10EEEES1D_EEENST_IJLi8ELi9ELi10ELi11EEEElEENS5_IJNSB_INS5_IJSK_SP_SP_NSQ_INS5_IJiS2E_NS2A_IiLi64EEEEEELb0EEES2Y_EEENS5_IJSU_SV_SW_SX_SY_EEENS5_IJS1P_SX_SY_NST_IJLi5ELi6ELi7EEEENST_IJLi8ELi9ELi10EEEEEEENST_IJLi5ELi6ELi7ELi8ELi9ELi10EEEElEEEEES35_NS_31BlockToCTileMap_M00_N00_M01_N01ILi128ELi128ES1Y_Lb0EEENS1_30ComputePtrOffsetOfStridedBatchILi1ELi1ELi1EvEELb0ELb0EEEvPKT0_S3D_T1_PT2_T3_T4_T5_iT6_T7_T8_T9_T10_T11_: ; @_ZN2ck16tensor_operation6device12_GLOBAL__N_137kernel_grouped_conv_fwd_dl_multiple_dINS_32GridwiseGemmDlMultipleD_km_kn_mnILi256EDF16_fNS_5TupleIJDF16_EEEDF16_NS0_12element_wise11PassThroughES8_NS7_7AddReluELNS_25InMemoryDataOperationEnumE0ENS_16TensorDescriptorINS5_IJNS_5EmbedINS5_IJiiiiiEEESD_Lb0EEENS_11PassThroughIiEENS_3PadIiiiLb0EEESI_SI_SG_SG_NSC_INS5_IJiiEEESJ_Lb0EEESK_SK_SG_NS_23Merge_v2_magic_divisionINS5_IJiiiiEEEEESN_NS_8RightPadIiiLb0EEESP_NS_7UnMergeISJ_Lb0EEESG_EEENS5_IJNS_8SequenceIJLi0EEEENST_IJLi1EEEENST_IJLi2EEEENST_IJLi3EEEENST_IJLi4EEEENST_IJLi5EEEENST_IJLi6EEEENST_IJLi7EEEENST_IJLi8EEEENST_IJLi9EEEENST_IJLi10EEEENST_IJLi11ELi13ELi15ELi17EEEENST_IJLi12ELi14ELi16ELi18EEEENST_IJLi19EEEENST_IJLi20EEEENST_IJLi22EEEENST_IJLi21EEEEEEENS5_IJNST_IJLi1ELi2ELi3ELi4ELi5EEEES10_S11_S12_S13_S14_NST_IJLi11EEEENST_IJLi12ELi13EEEENST_IJLi14ELi15EEEENST_IJLi16ELi17EEEENST_IJLi18EEEES17_S18_S1A_S19_NST_IJLi23ELi24EEEENST_IJLi25EEEEEEENST_IJLi23ELi25ELi24EEEElEENSB_INS5_IJSR_SP_SP_SR_SG_EEENS5_IJSU_SV_SW_SY_SX_EEENS5_IJNST_IJLi1ELi2EEEESX_SY_NST_IJLi5ELi6EEEES11_EEENST_IJLi5ELi7ELi6EEEElEENSB_INS5_IJSK_SP_SP_EEENS5_IJSU_SV_SW_EEENS5_IJS1P_SX_SY_EEENST_IJLi3ELi4EEEElEELi128ELi128ELi16ELi2ELi4ELi4ELi1ENST_IJLi8ELi2EEEES1Z_NST_IJLi8ELi1ELi1ELi2EEEENST_IJLi2ELi1ELi128ELi1EEEENST_IJLi1ELi2ELi0ELi3EEEES22_NST_IJLi4ELi1ELi1ELi2EEEES22_NST_IJLi1ELi1ELi1ELi2EEEES20_S21_S22_S22_S23_S22_S24_NST_IJLi0ELi1ELi2ELi3ELi4ELi5EEEELi5ELi4EEEDF16_NS5_IJPKDF16_EEEDF16_S8_S8_S9_NSB_INS5_IJSE_SG_SI_SI_SI_SG_SG_SK_SK_SK_SG_SN_SN_SP_SP_SR_SG_SG_NSQ_INS5_IJiNS_17integral_constantIiLi128EEEEEELb0EEENSF_INS2A_IiLi2EEEEEEEENS5_IJSU_SV_SW_SX_SY_SZ_S10_S11_S12_S13_S14_S15_S16_S17_S18_S19_S1A_NST_IJLi23EEEES1J_NST_IJLi24EEEEEEENS5_IJS1C_S10_S11_S12_S13_S14_S1D_S1E_S1F_S1G_S1H_S17_S18_S1A_S19_S1I_S1J_NST_IJLi26EEEENST_IJLi27ELi28EEEENST_IJLi29EEEEEEENST_IJLi26ELi27ELi28ELi29EEEElEENSB_INS5_IJSR_SP_SP_SR_SG_SG_S2D_S2F_EEENS5_IJSU_SV_SW_SY_SX_SZ_S11_S10_EEENS5_IJS1P_SX_SY_S1Q_S11_S12_NST_IJLi9ELi10EEEES1D_EEENST_IJLi8ELi9ELi10ELi11EEEElEENS5_IJNSB_INS5_IJSK_SP_SP_NSQ_INS5_IJiS2E_NS2A_IiLi64EEEEEELb0EEES2Y_EEENS5_IJSU_SV_SW_SX_SY_EEENS5_IJS1P_SX_SY_NST_IJLi5ELi6ELi7EEEENST_IJLi8ELi9ELi10EEEEEEENST_IJLi5ELi6ELi7ELi8ELi9ELi10EEEElEEEEES35_NS_31BlockToCTileMap_M00_N00_M01_N01ILi128ELi128ES1Y_Lb0EEENS1_30ComputePtrOffsetOfStridedBatchILi1ELi1ELi1EvEELb0ELb0EEEvPKT0_S3D_T1_PT2_T3_T4_T5_iT6_T7_T8_T9_T10_T11_
; %bb.0:
	s_clause 0x5
	s_load_b32 s2, s[0:1], 0x24
	s_load_b128 s[44:47], s[0:1], 0x3c
	s_load_b32 s34, s[0:1], 0x4c
	s_load_b32 s4, s[0:1], 0x300
	s_load_b256 s[24:31], s[0:1], 0x2d8
	s_load_b128 s[64:67], s[0:1], 0x2c0
	v_lshrrev_b32_e32 v28, 1, v0
	s_load_b32 s62, s[0:1], 0x28c
	v_dual_mov_b32 v21, 0 :: v_dual_lshlrev_b32 v22, 1, v0
	v_lshrrev_b32_e32 v61, 5, v0
	v_mov_b32_e32 v25, 0
	v_mov_b32_e32 v73, 0
	v_dual_mov_b32 v41, 0 :: v_dual_mov_b32 v44, 0
	s_delay_alu instid0(VALU_DEP_4)
	v_dual_mov_b32 v57, 0 :: v_dual_lshlrev_b32 v80, 6, v61
	v_dual_mov_b32 v74, 0 :: v_dual_mov_b32 v37, 0
	v_mov_b32_e32 v68, 0
	s_waitcnt lgkmcnt(0)
	s_abs_i32 s3, s2
	v_dual_mov_b32 v53, 0 :: v_dual_mov_b32 v36, 0
	v_cvt_f32_u32_e32 v1, s3
	s_sub_i32 s6, 0, s3
	s_abs_i32 s7, s4
	s_xor_b32 s2, s4, s2
	v_dual_mov_b32 v27, 0 :: v_dual_mov_b32 v38, 0
	v_rcp_iflag_f32_e32 v1, v1
	s_ashr_i32 s2, s2, 31
	v_dual_mov_b32 v29, 0 :: v_dual_mov_b32 v60, 0
	v_dual_mov_b32 v77, 0 :: v_dual_mov_b32 v32, 0
	;; [unrolled: 1-line block ×3, first 2 shown]
	v_mov_b32_e32 v75, 0
	v_dual_mov_b32 v43, 0 :: v_dual_mov_b32 v54, 0
	s_waitcnt_depctr 0xfff
	v_mul_f32_e32 v1, 0x4f7ffffe, v1
	v_dual_mov_b32 v71, 0 :: v_dual_mov_b32 v20, 0
	v_dual_mov_b32 v65, 0 :: v_dual_mov_b32 v50, 0
	s_delay_alu instid0(VALU_DEP_3) | instskip(SKIP_2) | instid1(VALU_DEP_3)
	v_cvt_u32_f32_e32 v1, v1
	v_dual_mov_b32 v33, 0 :: v_dual_mov_b32 v26, 0
	v_dual_mov_b32 v59, 0 :: v_dual_mov_b32 v48, 0
	v_readfirstlane_b32 s5, v1
	v_dual_mov_b32 v55, 0 :: v_dual_mov_b32 v72, 0
	v_dual_mov_b32 v51, 0 :: v_dual_mov_b32 v18, 0
	s_delay_alu instid0(VALU_DEP_3)
	s_mul_i32 s6, s6, s5
	v_dual_mov_b32 v49, 0 :: v_dual_mov_b32 v66, 0
	s_mul_hi_u32 s6, s5, s6
	v_mov_b32_e32 v31, 0
	s_add_i32 s5, s5, s6
	v_mov_b32_e32 v19, 0
	s_mul_hi_u32 s5, s7, s5
	v_mov_b32_e32 v24, 0
	s_mul_i32 s4, s5, s3
	s_add_i32 s6, s5, 1
	s_sub_i32 s4, s7, s4
	v_mov_b32_e32 v70, 0
	s_sub_i32 s7, s4, s3
	s_cmp_ge_u32 s4, s3
	v_mov_b32_e32 v46, 0
	s_cselect_b32 s5, s6, s5
	s_cselect_b32 s4, s7, s4
	s_add_i32 s6, s5, 1
	s_cmp_ge_u32 s4, s3
	v_mov_b32_e32 v62, 0
	s_cselect_b32 s3, s6, s5
	s_clause 0x1
	s_load_b256 s[16:23], s[0:1], 0x0
	s_load_b256 s[4:11], s[0:1], 0xec
	s_xor_b32 s3, s3, s2
	s_abs_i32 s14, s15
	s_sub_i32 s3, s3, s2
	s_load_b128 s[52:55], s[0:1], 0x10c
	s_waitcnt lgkmcnt(0)
	s_clause 0x2
	s_load_b32 s7, s[0:1], 0x120
	s_load_b32 s33, s[0:1], 0x12c
	;; [unrolled: 1-line block ×3, first 2 shown]
	s_abs_i32 s12, s3
	s_xor_b32 s3, s15, s3
	v_cvt_f32_u32_e32 v1, s12
	s_sub_i32 s13, 0, s12
	s_ashr_i32 s3, s3, 31
	s_clause 0x1
	s_load_b128 s[48:51], s[0:1], 0x298
	s_load_b128 s[56:59], s[0:1], 0x2ac
	v_mov_b32_e32 v40, 0
	v_rcp_iflag_f32_e32 v1, v1
	v_dual_mov_b32 v64, 0 :: v_dual_mov_b32 v69, 0
	v_mov_b32_e32 v56, 0
	v_mov_b32_e32 v52, 0
	;; [unrolled: 1-line block ×4, first 2 shown]
	v_dual_mov_b32 v30, 0 :: v_dual_mov_b32 v47, 0
	s_delay_alu instid0(TRANS32_DEP_1) | instskip(NEXT) | instid1(VALU_DEP_1)
	v_mul_f32_e32 v1, 0x4f7ffffe, v1
	v_cvt_u32_f32_e32 v1, v1
	s_delay_alu instid0(VALU_DEP_1) | instskip(SKIP_2) | instid1(VALU_DEP_3)
	v_readfirstlane_b32 s11, v1
	v_lshlrev_b32_e32 v1, 3, v0
	v_lshlrev_b32_e32 v0, 2, v0
	s_mul_i32 s13, s13, s11
	s_delay_alu instid0(VALU_DEP_2) | instskip(SKIP_1) | instid1(SALU_CYCLE_1)
	v_and_b32_e32 v39, 8, v1
	s_mul_hi_u32 s13, s11, s13
	s_add_i32 s11, s11, s13
	s_delay_alu instid0(SALU_CYCLE_1) | instskip(NEXT) | instid1(VALU_DEP_1)
	s_mul_hi_u32 s11, s14, s11
	v_or_b32_e32 v1, 4, v39
	s_mul_i32 s13, s11, s12
	s_waitcnt lgkmcnt(0)
	v_mul_lo_u32 v78, s2, v39
	s_sub_i32 s13, s14, s13
	s_add_i32 s14, s11, 1
	s_sub_i32 s35, s13, s12
	s_cmp_ge_u32 s13, s12
	v_mul_lo_u32 v79, s2, v1
	s_cselect_b32 s11, s14, s11
	s_cselect_b32 s13, s35, s13
	s_add_i32 s14, s11, 1
	s_cmp_ge_u32 s13, s12
	v_mul_hi_u32 v1, v78, s10
	s_cselect_b32 s11, s14, s11
	s_mul_hi_u32 s14, s59, s15
	s_xor_b32 s11, s11, s3
	v_mul_hi_u32 v2, v79, s10
	s_sub_i32 s3, s11, s3
	v_cmp_gt_i32_e32 vcc_lo, s33, v78
	s_ashr_i32 s11, s3, 31
	s_mul_hi_u32 s13, s24, s3
	s_mul_i32 s12, s24, s3
	s_mul_hi_u32 s38, s28, s3
	s_mul_i32 s24, s24, s11
	s_mul_i32 s39, s26, s11
	;; [unrolled: 1-line block ×4, first 2 shown]
	s_mul_hi_u32 s35, s26, s3
	s_mul_hi_u32 s37, s30, s3
	s_mul_i32 s29, s29, s3
	s_add_i32 s11, s38, s11
	s_mul_i32 s36, s28, s3
	s_add_i32 s13, s13, s24
	s_add_i32 s24, s35, s39
	;; [unrolled: 1-line block ×4, first 2 shown]
	s_mul_i32 s25, s25, s3
	s_mul_i32 s27, s27, s3
	;; [unrolled: 1-line block ×3, first 2 shown]
	s_lshl_b64 s[28:29], s[36:37], 1
	s_add_i32 s13, s13, s25
	s_add_i32 s25, s24, s27
	;; [unrolled: 1-line block ×3, first 2 shown]
	s_add_u32 s40, s20, s28
	s_addc_u32 s41, s21, s29
	s_lshl_b64 s[12:13], s[12:13], 1
	s_mul_i32 s24, s26, s3
	s_add_u32 s36, s16, s12
	s_addc_u32 s37, s17, s13
	s_lshl_b64 s[12:13], s[24:25], 1
	s_mul_i32 s26, s30, s3
	s_add_u32 s60, s18, s12
	s_addc_u32 s61, s19, s13
	s_lshl_b64 s[12:13], s[26:27], 1
	s_clause 0x1
	s_load_b32 s3, s[0:1], 0x27c
	s_load_b256 s[24:31], s[0:1], 0xb8
	s_add_u32 s12, s22, s12
	s_addc_u32 s13, s23, s13
	s_add_i32 s2, s15, s14
	v_add_nc_u32_e32 v1, v78, v1
	s_lshr_b32 s38, s2, s67
	v_add_nc_u32_e32 v2, v79, v2
	s_mul_hi_u32 s2, s38, s58
	s_load_b256 s[16:23], s[0:1], 0x54
	s_add_i32 s2, s38, s2
	v_lshrrev_b32_e32 v4, s54, v1
	s_lshr_b32 s43, s2, s66
	v_lshrrev_b32_e32 v6, s54, v2
	s_mul_hi_u32 s2, s43, s57
	s_mul_i32 s10, s43, s50
	s_add_i32 s2, s43, s2
	s_sub_i32 s10, s38, s10
	s_lshr_b32 s65, s2, s65
	v_mul_hi_u32 v1, v4, s9
	s_mul_hi_u32 s2, s65, s56
	s_load_b128 s[56:59], s[0:1], 0xd8
	s_add_i32 s2, s65, s2
	v_mul_hi_u32 v2, v6, s9
	s_lshr_b32 s2, s2, s64
	v_mul_lo_u32 v3, v4, s6
	s_mul_i32 s2, s2, s48
	v_add_nc_u32_e32 v1, v4, v1
	s_sub_i32 s2, s65, s2
	s_mul_i32 s65, s65, s49
	s_waitcnt lgkmcnt(0)
	s_mul_i32 s2, s2, s3
	v_add_nc_u32_e32 v2, v6, v2
	s_add_i32 s10, s10, s2
	v_lshrrev_b32_e32 v7, s53, v1
	s_lshl_b32 s27, s10, 7
	v_sub_nc_u32_e32 v1, v78, v3
	v_or_b32_e32 v88, s27, v28
	v_lshrrev_b32_e32 v8, s53, v2
	v_mul_hi_u32 v2, v7, s8
	v_mul_lo_u32 v9, v7, s5
	s_clause 0x2
	s_load_b64 s[2:3], s[0:1], 0x88
	s_load_b64 s[10:11], s[0:1], 0x98
	;; [unrolled: 1-line block ×3, first 2 shown]
	v_mul_hi_u32 v5, v88, s30
	v_mul_lo_u32 v17, v1, s34
	s_clause 0x4
	s_load_b32 s9, s[0:1], 0x160
	s_load_b32 s48, s[0:1], 0x170
	;; [unrolled: 1-line block ×5, first 2 shown]
	s_mul_i32 s38, s38, s51
	s_mov_b32 s39, 0x31004000
	v_add_nc_u32_e32 v11, v7, v2
	s_mov_b32 s63, s39
	s_sub_i32 s19, s19, s21
	v_add_nc_u32_e32 v3, v88, v5
	v_mul_hi_u32 v5, v8, s8
	v_lshrrev_b32_e32 v11, s52, v11
	s_clause 0x2
	s_load_b32 s8, s[0:1], 0x1c0
	s_load_b64 s[30:31], s[0:1], 0x1d0
	s_load_b32 s14, s[0:1], 0x1dc
	s_sub_i32 s16, s16, s18
	v_lshrrev_b32_e32 v10, s58, v3
	v_mad_u64_u32 v[2:3], null, v6, s6, v[1:2]
	v_sub_nc_u32_e32 v3, v4, v9
	v_add_nc_u32_e32 v12, v8, v5
	s_delay_alu instid0(VALU_DEP_4)
	v_mul_hi_u32 v9, v10, s29
	v_cmp_gt_i32_e64 s6, s7, v88
	v_mov_b32_e32 v78, 0
	v_mad_u64_u32 v[4:5], null, v8, s5, v[3:4]
	v_mul_lo_u32 v5, v11, s4
	v_sub_nc_u32_e32 v2, v79, v2
	v_lshrrev_b32_e32 v12, s52, v12
	v_add_nc_u32_e32 v9, v10, v9
	s_waitcnt lgkmcnt(0)
	v_mul_lo_u32 v13, s50, v39
	v_mul_lo_u32 v1, v2, s34
	v_sub_nc_u32_e32 v6, v6, v4
	v_lshrrev_b32_e32 v9, s57, v9
	v_sub_nc_u32_e32 v2, v7, v5
	v_sub_nc_u32_e32 v14, v12, v11
	s_delay_alu instid0(VALU_DEP_4) | instskip(NEXT) | instid1(VALU_DEP_4)
	v_mul_lo_u32 v90, v6, s54
	v_mul_hi_u32 v7, v9, s28
	s_delay_alu instid0(VALU_DEP_4)
	v_mad_u64_u32 v[4:5], null, v12, s4, v[2:3]
	v_mul_lo_u32 v6, v10, s26
	v_mul_lo_u32 v3, v3, s54
	;; [unrolled: 1-line block ×3, first 2 shown]
	s_sub_i32 s4, s43, s65
	v_mul_lo_u32 v89, v14, s2
	v_add_nc_u32_e32 v7, v9, v7
	v_sub_nc_u32_e32 v4, v8, v4
	v_mul_lo_u32 v8, v9, s25
	v_sub_nc_u32_e32 v6, v88, v6
	v_mul_lo_u32 v5, v11, s2
	v_lshrrev_b32_e32 v7, s56, v7
	s_sub_i32 s2, s15, s38
	s_mul_i32 s4, s4, s62
	v_mad_u64_u32 v[14:15], null, v6, s55, v[3:4]
	s_delay_alu instid0(VALU_DEP_2)
	v_mul_lo_u32 v12, v7, s24
	v_sub_nc_u32_e32 v8, v10, v8
	s_add_i32 s2, s2, s4
	v_mul_lo_u32 v91, v4, s10
	s_lshl_b32 s26, s2, 7
	s_lshl_b32 s2, s50, 2
	v_mad_u64_u32 v[15:16], null, v8, s11, v[2:3]
	s_delay_alu instid0(VALU_DEP_4)
	v_sub_nc_u32_e32 v2, v9, v12
	v_or_b32_e32 v92, s26, v28
	v_subrev_nc_u32_e32 v4, s23, v14
	s_lshl_b32 s62, s8, 1
	v_mul_lo_u32 v11, v89, s45
	v_mad_u64_u32 v[34:35], null, v2, s3, v[5:6]
	v_mad_u64_u32 v[2:3], null, v92, s48, v[13:14]
	v_subrev_nc_u32_e32 v5, s20, v15
	v_mul_lo_u32 v6, v7, s44
	s_lshl_b32 s38, s9, 1
	v_cmp_gt_i32_e64 s5, s35, v92
	v_mov_b32_e32 v35, 0
	v_mul_lo_u32 v3, v5, s46
	v_mad_u64_u32 v[9:10], null, v90, s47, v[1:2]
	v_mul_lo_u32 v1, v4, s47
	v_subrev_nc_u32_e32 v4, s17, v34
	v_lshlrev_b32_e32 v5, 1, v2
	v_add_lshl_u32 v8, v2, s2, 1
	v_mul_lo_u32 v10, v91, s46
	s_mov_b32 s43, s39
	v_mul_lo_u32 v7, v4, s45
	v_add3_u32 v12, v1, v17, v3
	buffer_load_b128 v[1:4], v5, s[60:63], 0 offen
	v_and_b32_e32 v23, 0x1f8, v22
	v_lshlrev_b32_e32 v93, 2, v28
	v_add3_u32 v9, v9, v11, v10
	v_mov_b32_e32 v17, 0
	v_add3_u32 v12, v12, v6, v7
	buffer_load_b128 v[5:8], v8, s[60:63], 0 offen
	v_sub_nc_u32_e32 v80, v23, v80
	v_mov_b32_e32 v28, 0
	v_lshlrev_b32_e32 v10, 1, v12
	v_add_lshl_u32 v16, v9, v12, 1
	s_clause 0x1
	buffer_load_b128 v[9:12], v10, s[36:39], 0 offen
	buffer_load_b128 v[84:87], v16, s[36:39], 0 offen
	s_clause 0x6
	s_load_b32 s3, s[0:1], 0x74
	s_load_b32 s25, s[0:1], 0x1e8
	;; [unrolled: 1-line block ×3, first 2 shown]
	s_load_b64 s[10:11], s[0:1], 0x220
	s_load_b32 s9, s[0:1], 0x22c
	s_load_b32 s24, s[0:1], 0x238
	;; [unrolled: 1-line block ×3, first 2 shown]
	v_and_or_b32 v82, v0, 4, v80
	v_lshl_or_b32 v0, v39, 9, v93
	v_add_nc_u32_e32 v39, s2, v13
	v_cmp_gt_i32_e64 s1, s42, v13
	v_add_nc_u32_e32 v13, v14, v90
	v_cmp_gt_i32_e64 s0, s33, v79
	v_mov_b32_e32 v16, 0
	v_cmp_gt_i32_e64 s2, s42, v39
	s_delay_alu instid0(VALU_DEP_4)
	v_cmp_le_i32_e64 s7, s23, v13
	s_waitcnt lgkmcnt(0)
	s_sub_i32 s8, s22, s3
	v_cmp_le_i32_e64 s3, s23, v14
	v_cmp_gt_i32_e64 s4, s8, v14
	v_cmp_gt_i32_e64 s8, s8, v13
	v_add_nc_u32_e32 v13, v15, v91
	s_lshl_b32 s42, s28, 1
	v_add_nc_u32_e32 v14, v34, v89
	s_and_b32 s18, s3, s4
	s_and_b32 s7, s7, s8
	s_and_b32 s8, vcc_lo, s18
	s_and_b32 s18, s0, s7
	v_cmp_le_i32_e32 vcc_lo, s20, v13
	v_cmp_gt_i32_e64 s0, s19, v13
	v_cmp_le_i32_e64 s3, s20, v15
	v_cmp_gt_i32_e64 s4, s19, v15
	s_delay_alu instid0(VALU_DEP_3) | instskip(SKIP_1) | instid1(VALU_DEP_1)
	s_and_b32 s0, vcc_lo, s0
	s_and_b32 vcc_lo, s1, s5
	s_and_b32 s7, s3, s4
	v_cmp_le_i32_e64 s3, s17, v34
	v_cmp_gt_i32_e64 s4, s16, v34
	v_mov_b32_e32 v34, 0
	s_and_b32 s19, s8, s7
	s_and_b32 s0, s18, s0
	v_cmp_le_i32_e64 s7, s17, v14
	v_cmp_gt_i32_e64 s8, s16, v14
	s_and_b32 s3, s3, s4
	s_delay_alu instid0(SALU_CYCLE_1) | instskip(NEXT) | instid1(VALU_DEP_1)
	s_and_b32 s3, s19, s3
	s_and_b32 s4, s7, s8
	s_delay_alu instid0(SALU_CYCLE_1)
	s_and_b32 s0, s0, s4
	s_add_i32 s4, s11, s10
	s_waitcnt vmcnt(3)
	v_dual_cndmask_b32 v4, 0, v4 :: v_dual_cndmask_b32 v3, 0, v3
	v_dual_cndmask_b32 v2, 0, v2 :: v_dual_cndmask_b32 v1, 0, v1
	s_and_b32 vcc_lo, s2, s5
	s_waitcnt vmcnt(2)
	v_dual_cndmask_b32 v8, 0, v8 :: v_dual_and_b32 v63, 0x1fc, v22
	v_dual_cndmask_b32 v6, 0, v6 :: v_dual_cndmask_b32 v5, 0, v5
	v_cndmask_b32_e32 v7, 0, v7, vcc_lo
	s_delay_alu instid0(VALU_DEP_3)
	v_sub_nc_u32_e32 v81, v63, v23
	v_mov_b32_e32 v23, 0
	v_mov_b32_e32 v63, 0
	s_and_b32 vcc_lo, s6, s3
	ds_store_2addr_stride64_b32 v0, v1, v2 offset0:64 offset1:66
	ds_store_2addr_stride64_b32 v0, v3, v4 offset0:68 offset1:70
	;; [unrolled: 1-line block ×3, first 2 shown]
	v_lshl_add_u32 v83, v61, 3, v81
	v_mov_b32_e32 v67, 0
	s_waitcnt vmcnt(1)
	v_dual_mov_b32 v61, 0 :: v_dual_cndmask_b32 v2, 0, v11
	v_dual_cndmask_b32 v4, 0, v9 :: v_dual_lshlrev_b32 v81, 2, v82
	v_dual_cndmask_b32 v1, 0, v12 :: v_dual_lshlrev_b32 v80, 2, v83
	v_cndmask_b32_e32 v3, 0, v10, vcc_lo
	s_and_b32 vcc_lo, s6, s0
	v_mov_b32_e32 v22, 0
	s_waitcnt vmcnt(0)
	v_dual_cndmask_b32 v6, 0, v85 :: v_dual_cndmask_b32 v9, 0, v84
	v_dual_cndmask_b32 v5, 0, v87 :: v_dual_cndmask_b32 v10, 0, v86
	ds_store_2addr_stride64_b32 v0, v7, v8 offset0:76 offset1:78
	ds_store_2addr_stride64_b32 v0, v4, v3 offset1:2
	ds_store_2addr_stride64_b32 v0, v2, v1 offset0:4 offset1:6
	ds_store_2addr_stride64_b32 v0, v9, v6 offset0:8 offset1:10
	ds_store_2addr_stride64_b32 v0, v10, v5 offset0:12 offset1:14
	s_waitcnt lgkmcnt(0)
	s_barrier
	buffer_gl0_inv
	ds_load_b128 v[0:3], v80
	ds_load_b128 v[4:7], v81 offset:16384
	ds_load_b128 v[8:11], v81 offset:16640
	;; [unrolled: 1-line block ×16, first 2 shown]
	v_mov_b32_e32 v79, 0
	v_mov_b32_e32 v39, 0
	s_lshl_b32 s0, s31, 6
	v_add_nc_u32_e32 v82, s26, v82
	s_waitcnt lgkmcnt(13)
	v_dot2acc_f32_f16 v72, v12, v9
	v_dot2acc_f32_f16 v18, v12, v10
	;; [unrolled: 1-line block ×8, first 2 shown]
	s_waitcnt lgkmcnt(9)
	v_dot2acc_f32_f16 v72, v96, v89
	v_dot2acc_f32_f16 v18, v96, v90
	v_dual_dot2acc_f32_f16 v66, v97, v89 :: v_dual_dot2acc_f32_f16 v77, v0, v8
	v_dual_dot2acc_f32_f16 v54, v13, v5 :: v_dual_dot2acc_f32_f16 v69, v0, v4
	v_dot2acc_f32_f16 v74, v1, v9
	v_dot2acc_f32_f16 v70, v0, v5
	;; [unrolled: 1-line block ×3, first 2 shown]
	v_dual_dot2acc_f32_f16 v47, v0, v7 :: v_dual_dot2acc_f32_f16 v42, v1, v10
	v_dot2acc_f32_f16 v62, v1, v4
	v_dot2acc_f32_f16 v64, v1, v5
	v_dot2acc_f32_f16 v40, v1, v6
	v_dual_dot2acc_f32_f16 v41, v1, v7 :: v_dual_dot2acc_f32_f16 v68, v2, v9
	v_dot2acc_f32_f16 v56, v2, v4
	v_dual_dot2acc_f32_f16 v57, v2, v5 :: v_dual_dot2acc_f32_f16 v32, v3, v10
	v_dual_dot2acc_f32_f16 v35, v2, v6 :: v_dual_dot2acc_f32_f16 v60, v3, v9
	;; [unrolled: 1-line block ×3, first 2 shown]
	v_dot2acc_f32_f16 v52, v3, v4
	v_dual_dot2acc_f32_f16 v53, v3, v5 :: v_dual_dot2acc_f32_f16 v36, v2, v10
	v_dual_dot2acc_f32_f16 v27, v3, v6 :: v_dual_dot2acc_f32_f16 v38, v2, v11
	v_dual_dot2acc_f32_f16 v29, v3, v7 :: v_dual_dot2acc_f32_f16 v16, v12, v6
	v_dot2acc_f32_f16 v76, v0, v9
	v_dot2acc_f32_f16 v44, v0, v10
	v_dual_dot2acc_f32_f16 v45, v0, v11 :: v_dual_dot2acc_f32_f16 v20, v13, v6
	v_dual_dot2acc_f32_f16 v75, v1, v8 :: v_dual_dot2acc_f32_f16 v26, v14, v7
	;; [unrolled: 1-line block ×4, first 2 shown]
	v_dot2acc_f32_f16 v65, v3, v8
	v_dot2acc_f32_f16 v33, v3, v11
	v_dual_dot2acc_f32_f16 v59, v12, v5 :: v_dual_dot2acc_f32_f16 v30, v15, v6
	v_dot2acc_f32_f16 v17, v12, v7
	v_dot2acc_f32_f16 v55, v13, v4
	v_dot2acc_f32_f16 v21, v13, v7
	v_dot2acc_f32_f16 v51, v14, v5
	v_dot2acc_f32_f16 v25, v14, v6
	v_dot2acc_f32_f16 v49, v15, v4
	v_dual_dot2acc_f32_f16 v31, v15, v7 :: v_dual_dot2acc_f32_f16 v70, v92, v85
	v_dual_dot2acc_f32_f16 v73, v12, v8 :: v_dual_dot2acc_f32_f16 v64, v93, v85
	;; [unrolled: 1-line block ×9, first 2 shown]
	ds_load_b128 v[0:3], v81 offset:18432
	ds_load_b128 v[4:7], v81 offset:18688
	;; [unrolled: 1-line block ×4, first 2 shown]
	v_dual_dot2acc_f32_f16 v69, v92, v84 :: v_dual_dot2acc_f32_f16 v74, v93, v89
	v_dual_dot2acc_f32_f16 v47, v92, v87 :: v_dual_dot2acc_f32_f16 v42, v93, v90
	;; [unrolled: 1-line block ×14, first 2 shown]
	v_dot2acc_f32_f16 v65, v95, v88
	v_dot2acc_f32_f16 v33, v95, v91
	v_dual_dot2acc_f32_f16 v59, v96, v85 :: v_dual_dot2acc_f32_f16 v30, v99, v86
	v_dot2acc_f32_f16 v17, v96, v87
	v_dual_dot2acc_f32_f16 v55, v97, v84 :: v_dual_dot2acc_f32_f16 v28, v98, v90
	v_dual_dot2acc_f32_f16 v21, v97, v87 :: v_dual_dot2acc_f32_f16 v78, v99, v88
	;; [unrolled: 1-line block ×5, first 2 shown]
	s_waitcnt lgkmcnt(10)
	v_dual_dot2acc_f32_f16 v31, v99, v87 :: v_dual_dot2acc_f32_f16 v70, v108, v101
	v_dual_dot2acc_f32_f16 v73, v96, v88 :: v_dual_dot2acc_f32_f16 v64, v109, v101
	;; [unrolled: 1-line block ×14, first 2 shown]
	s_waitcnt lgkmcnt(9)
	v_dual_dot2acc_f32_f16 v37, v110, v103 :: v_dual_dot2acc_f32_f16 v58, v112, v100
	v_dual_dot2acc_f32_f16 v53, v111, v101 :: v_dual_dot2acc_f32_f16 v36, v110, v106
	;; [unrolled: 1-line block ×18, first 2 shown]
	s_waitcnt lgkmcnt(6)
	v_dual_dot2acc_f32_f16 v31, v115, v103 :: v_dual_dot2acc_f32_f16 v70, v124, v117
	v_dual_dot2acc_f32_f16 v73, v112, v104 :: v_dual_dot2acc_f32_f16 v64, v125, v117
	;; [unrolled: 1-line block ×14, first 2 shown]
	s_waitcnt lgkmcnt(5)
	v_dual_dot2acc_f32_f16 v37, v126, v119 :: v_dual_dot2acc_f32_f16 v58, v128, v116
	v_dual_dot2acc_f32_f16 v53, v127, v117 :: v_dual_dot2acc_f32_f16 v36, v126, v122
	v_dual_dot2acc_f32_f16 v27, v127, v118 :: v_dual_dot2acc_f32_f16 v38, v126, v123
	v_dual_dot2acc_f32_f16 v29, v127, v119 :: v_dual_dot2acc_f32_f16 v16, v128, v118
	v_dual_dot2acc_f32_f16 v77, v124, v120 :: v_dual_dot2acc_f32_f16 v54, v129, v117
	v_dual_dot2acc_f32_f16 v45, v124, v123 :: v_dual_dot2acc_f32_f16 v20, v129, v118
	v_dual_dot2acc_f32_f16 v75, v125, v120 :: v_dual_dot2acc_f32_f16 v26, v130, v119
	v_dual_dot2acc_f32_f16 v43, v125, v123 :: v_dual_dot2acc_f32_f16 v50, v130, v116
	v_dual_dot2acc_f32_f16 v71, v126, v120 :: v_dual_dot2acc_f32_f16 v48, v131, v117
	v_dual_dot2acc_f32_f16 v65, v127, v120 :: v_dual_dot2acc_f32_f16 v72, v128, v121
	v_dual_dot2acc_f32_f16 v33, v127, v123 :: v_dual_dot2acc_f32_f16 v18, v128, v122
	v_dual_dot2acc_f32_f16 v59, v128, v117 :: v_dual_dot2acc_f32_f16 v30, v131, v118
	v_dual_dot2acc_f32_f16 v17, v128, v119 :: v_dual_dot2acc_f32_f16 v66, v129, v121
	v_dual_dot2acc_f32_f16 v55, v129, v116 :: v_dual_dot2acc_f32_f16 v28, v130, v122
	v_dual_dot2acc_f32_f16 v21, v129, v119 :: v_dual_dot2acc_f32_f16 v78, v131, v120
	v_dual_dot2acc_f32_f16 v51, v130, v117 :: v_dual_dot2acc_f32_f16 v22, v129, v122
	v_dual_dot2acc_f32_f16 v25, v130, v118 :: v_dual_dot2acc_f32_f16 v24, v131, v123
	v_dual_dot2acc_f32_f16 v49, v131, v116 :: v_dual_dot2acc_f32_f16 v34, v130, v123
	s_waitcnt lgkmcnt(3)
	v_dual_dot2acc_f32_f16 v31, v131, v119 :: v_dual_dot2acc_f32_f16 v70, v132, v1
	v_dual_dot2acc_f32_f16 v73, v128, v120 :: v_dual_dot2acc_f32_f16 v64, v133, v1
	v_dual_dot2acc_f32_f16 v19, v128, v123 :: v_dual_dot2acc_f32_f16 v62, v133, v0
	v_dual_dot2acc_f32_f16 v67, v129, v120 :: v_dual_dot2acc_f32_f16 v46, v132, v2
	v_dual_dot2acc_f32_f16 v23, v129, v123 :: v_dual_dot2acc_f32_f16 v56, v134, v0
	v_dual_dot2acc_f32_f16 v63, v130, v120 :: v_dual_dot2acc_f32_f16 v40, v133, v2
	v_dual_dot2acc_f32_f16 v61, v130, v121 :: v_dual_dot2acc_f32_f16 v52, v135, v0
	s_waitcnt lgkmcnt(2)
	v_dual_dot2acc_f32_f16 v79, v131, v121 :: v_dual_dot2acc_f32_f16 v44, v132, v6
	v_dual_dot2acc_f32_f16 v39, v131, v122 :: v_dual_dot2acc_f32_f16 v76, v132, v5
	v_dual_dot2acc_f32_f16 v69, v132, v0 :: v_dual_dot2acc_f32_f16 v74, v133, v5
	v_dual_dot2acc_f32_f16 v47, v132, v3 :: v_dual_dot2acc_f32_f16 v42, v133, v6
	v_dual_dot2acc_f32_f16 v41, v133, v3 :: v_dual_dot2acc_f32_f16 v68, v134, v5
	v_dual_dot2acc_f32_f16 v57, v134, v1 :: v_dual_dot2acc_f32_f16 v32, v135, v6
	v_dual_dot2acc_f32_f16 v35, v134, v2 :: v_dual_dot2acc_f32_f16 v60, v135, v5
	;; [unrolled: 8-line block ×3, first 2 shown]
	v_dual_dot2acc_f32_f16 v43, v133, v7 :: v_dual_dot2acc_f32_f16 v50, v10, v0
	v_dual_dot2acc_f32_f16 v71, v134, v4 :: v_dual_dot2acc_f32_f16 v48, v11, v1
	;; [unrolled: 1-line block ×11, first 2 shown]
	ds_load_b128 v[84:87], v81 offset:18944
	v_dot2acc_f32_f16 v31, v11, v3
	ds_load_b128 v[0:3], v81 offset:19200
	v_dot2acc_f32_f16 v73, v8, v4
	v_dot2acc_f32_f16 v19, v8, v7
	;; [unrolled: 1-line block ×8, first 2 shown]
	ds_load_b128 v[4:7], v80 offset:2816
	ds_load_b128 v[8:11], v80 offset:3072
	;; [unrolled: 1-line block ×3, first 2 shown]
	v_cmp_gt_i32_e32 vcc_lo, s25, v82
	s_waitcnt lgkmcnt(4)
	v_dot2acc_f32_f16 v69, v12, v84
	v_dot2acc_f32_f16 v70, v12, v85
	s_waitcnt lgkmcnt(3)
	v_dot2acc_f32_f16 v74, v13, v1
	v_dot2acc_f32_f16 v46, v12, v86
	v_dual_dot2acc_f32_f16 v47, v12, v87 :: v_dual_dot2acc_f32_f16 v42, v13, v2
	v_dot2acc_f32_f16 v62, v13, v84
	v_dot2acc_f32_f16 v64, v13, v85
	v_dot2acc_f32_f16 v40, v13, v86
	v_dual_dot2acc_f32_f16 v41, v13, v87 :: v_dual_dot2acc_f32_f16 v68, v14, v1
	v_dot2acc_f32_f16 v56, v14, v84
	v_dual_dot2acc_f32_f16 v57, v14, v85 :: v_dual_dot2acc_f32_f16 v32, v15, v2
	v_dual_dot2acc_f32_f16 v35, v14, v86 :: v_dual_dot2acc_f32_f16 v60, v15, v1
	s_waitcnt lgkmcnt(2)
	v_dual_dot2acc_f32_f16 v37, v14, v87 :: v_dual_dot2acc_f32_f16 v58, v4, v84
	v_dot2acc_f32_f16 v52, v15, v84
	v_dual_dot2acc_f32_f16 v53, v15, v85 :: v_dual_dot2acc_f32_f16 v36, v14, v2
	v_dual_dot2acc_f32_f16 v27, v15, v86 :: v_dual_dot2acc_f32_f16 v38, v14, v3
	v_dual_dot2acc_f32_f16 v29, v15, v87 :: v_dual_dot2acc_f32_f16 v16, v4, v86
	v_dual_dot2acc_f32_f16 v77, v12, v0 :: v_dual_dot2acc_f32_f16 v54, v5, v85
	v_dot2acc_f32_f16 v76, v12, v1
	v_dot2acc_f32_f16 v44, v12, v2
	v_dual_dot2acc_f32_f16 v45, v12, v3 :: v_dual_dot2acc_f32_f16 v20, v5, v86
	v_dual_dot2acc_f32_f16 v75, v13, v0 :: v_dual_dot2acc_f32_f16 v26, v6, v87
	;; [unrolled: 1-line block ×13, first 2 shown]
	ds_load_b128 v[12:15], v81 offset:19456
	v_dot2acc_f32_f16 v31, v7, v87
	ds_load_b128 v[84:87], v81 offset:19712
	v_dot2acc_f32_f16 v73, v4, v0
	v_dot2acc_f32_f16 v19, v4, v3
	;; [unrolled: 1-line block ×8, first 2 shown]
	ds_load_b128 v[0:3], v80 offset:3328
	ds_load_b128 v[4:7], v80 offset:3584
	s_waitcnt lgkmcnt(3)
	v_dot2acc_f32_f16 v69, v8, v12
	v_dot2acc_f32_f16 v70, v8, v13
	s_waitcnt lgkmcnt(2)
	v_dot2acc_f32_f16 v74, v9, v85
	v_dot2acc_f32_f16 v46, v8, v14
	v_dual_dot2acc_f32_f16 v47, v8, v15 :: v_dual_dot2acc_f32_f16 v42, v9, v86
	v_dot2acc_f32_f16 v62, v9, v12
	v_dot2acc_f32_f16 v64, v9, v13
	v_dot2acc_f32_f16 v40, v9, v14
	v_dual_dot2acc_f32_f16 v41, v9, v15 :: v_dual_dot2acc_f32_f16 v68, v10, v85
	v_dot2acc_f32_f16 v56, v10, v12
	v_dual_dot2acc_f32_f16 v57, v10, v13 :: v_dual_dot2acc_f32_f16 v32, v11, v86
	v_dual_dot2acc_f32_f16 v35, v10, v14 :: v_dual_dot2acc_f32_f16 v60, v11, v85
	s_waitcnt lgkmcnt(1)
	v_dual_dot2acc_f32_f16 v37, v10, v15 :: v_dual_dot2acc_f32_f16 v58, v0, v12
	v_dot2acc_f32_f16 v52, v11, v12
	v_dual_dot2acc_f32_f16 v53, v11, v13 :: v_dual_dot2acc_f32_f16 v36, v10, v86
	v_dual_dot2acc_f32_f16 v27, v11, v14 :: v_dual_dot2acc_f32_f16 v38, v10, v87
	;; [unrolled: 1-line block ×4, first 2 shown]
	v_dot2acc_f32_f16 v76, v8, v85
	v_dot2acc_f32_f16 v44, v8, v86
	v_dual_dot2acc_f32_f16 v45, v8, v87 :: v_dual_dot2acc_f32_f16 v20, v1, v14
	v_dual_dot2acc_f32_f16 v75, v9, v84 :: v_dual_dot2acc_f32_f16 v26, v2, v15
	;; [unrolled: 1-line block ×13, first 2 shown]
	ds_load_b128 v[8:11], v81 offset:19968
	v_dot2acc_f32_f16 v31, v3, v15
	ds_load_b128 v[12:15], v81 offset:20224
	v_dot2acc_f32_f16 v73, v0, v84
	v_dot2acc_f32_f16 v19, v0, v87
	;; [unrolled: 1-line block ×8, first 2 shown]
	ds_load_b128 v[0:3], v80 offset:3840
	ds_load_b128 v[84:87], v81 offset:20480
	s_waitcnt lgkmcnt(3)
	v_dot2acc_f32_f16 v69, v4, v8
	v_dot2acc_f32_f16 v70, v4, v9
	s_waitcnt lgkmcnt(2)
	v_dot2acc_f32_f16 v74, v5, v13
	v_dot2acc_f32_f16 v46, v4, v10
	v_dual_dot2acc_f32_f16 v47, v4, v11 :: v_dual_dot2acc_f32_f16 v42, v5, v14
	v_dot2acc_f32_f16 v62, v5, v8
	v_dot2acc_f32_f16 v64, v5, v9
	v_dot2acc_f32_f16 v40, v5, v10
	v_dual_dot2acc_f32_f16 v41, v5, v11 :: v_dual_dot2acc_f32_f16 v68, v6, v13
	v_dot2acc_f32_f16 v56, v6, v8
	v_dual_dot2acc_f32_f16 v57, v6, v9 :: v_dual_dot2acc_f32_f16 v32, v7, v14
	v_dual_dot2acc_f32_f16 v35, v6, v10 :: v_dual_dot2acc_f32_f16 v60, v7, v13
	;; [unrolled: 1-line block ×5, first 2 shown]
	v_dot2acc_f32_f16 v29, v7, v11
	v_dot2acc_f32_f16 v77, v4, v12
	v_dot2acc_f32_f16 v76, v4, v13
	v_dot2acc_f32_f16 v44, v4, v14
	v_dot2acc_f32_f16 v45, v4, v15
	v_dot2acc_f32_f16 v75, v5, v12
	v_dot2acc_f32_f16 v43, v5, v15
	v_dot2acc_f32_f16 v71, v6, v12
	v_dot2acc_f32_f16 v65, v7, v12
	v_dot2acc_f32_f16 v33, v7, v15
	ds_load_b128 v[4:7], v80 offset:4096
	s_waitcnt lgkmcnt(2)
	v_dot2acc_f32_f16 v18, v0, v14
	v_dot2acc_f32_f16 v58, v0, v8
	v_dual_dot2acc_f32_f16 v59, v0, v9 :: v_dual_dot2acc_f32_f16 v30, v3, v10
	v_dot2acc_f32_f16 v16, v0, v10
	v_dual_dot2acc_f32_f16 v17, v0, v11 :: v_dual_dot2acc_f32_f16 v66, v1, v13
	v_dual_dot2acc_f32_f16 v55, v1, v8 :: v_dual_dot2acc_f32_f16 v28, v2, v14
	v_dot2acc_f32_f16 v54, v1, v9
	v_dot2acc_f32_f16 v20, v1, v10
	v_dual_dot2acc_f32_f16 v21, v1, v11 :: v_dual_dot2acc_f32_f16 v78, v3, v12
	v_dot2acc_f32_f16 v50, v2, v8
	v_dual_dot2acc_f32_f16 v51, v2, v9 :: v_dual_dot2acc_f32_f16 v22, v1, v14
	v_dual_dot2acc_f32_f16 v25, v2, v10 :: v_dual_dot2acc_f32_f16 v24, v3, v15
	;; [unrolled: 1-line block ×3, first 2 shown]
	v_dot2acc_f32_f16 v34, v2, v15
	v_dot2acc_f32_f16 v48, v3, v9
	v_dual_dot2acc_f32_f16 v31, v3, v11 :: v_dual_dot2acc_f32_f16 v72, v0, v13
	ds_load_b128 v[8:11], v81 offset:20736
	s_waitcnt lgkmcnt(1)
	v_dot2acc_f32_f16 v70, v4, v85
	v_dual_dot2acc_f32_f16 v73, v0, v12 :: v_dual_dot2acc_f32_f16 v64, v5, v85
	v_dual_dot2acc_f32_f16 v19, v0, v15 :: v_dual_dot2acc_f32_f16 v62, v5, v84
	;; [unrolled: 1-line block ×6, first 2 shown]
	v_dot2acc_f32_f16 v79, v3, v13
	v_dot2acc_f32_f16 v39, v3, v14
	ds_load_b128 v[0:3], v80 offset:4352
	v_dot2acc_f32_f16 v69, v4, v84
	v_dot2acc_f32_f16 v47, v4, v87
	s_waitcnt lgkmcnt(1)
	v_dual_dot2acc_f32_f16 v41, v5, v87 :: v_dual_dot2acc_f32_f16 v68, v6, v9
	v_dual_dot2acc_f32_f16 v57, v6, v85 :: v_dual_dot2acc_f32_f16 v32, v7, v10
	;; [unrolled: 1-line block ×3, first 2 shown]
	v_dot2acc_f32_f16 v37, v6, v87
	v_dual_dot2acc_f32_f16 v53, v7, v85 :: v_dual_dot2acc_f32_f16 v36, v6, v10
	v_dual_dot2acc_f32_f16 v27, v7, v86 :: v_dual_dot2acc_f32_f16 v38, v6, v11
	v_dot2acc_f32_f16 v29, v7, v87
	v_dot2acc_f32_f16 v77, v4, v8
	;; [unrolled: 1-line block ×12, first 2 shown]
	ds_load_b128 v[4:7], v80 offset:4608
	s_waitcnt lgkmcnt(1)
	v_dot2acc_f32_f16 v18, v0, v10
	v_dot2acc_f32_f16 v58, v0, v84
	v_dual_dot2acc_f32_f16 v59, v0, v85 :: v_dual_dot2acc_f32_f16 v30, v3, v86
	v_dot2acc_f32_f16 v16, v0, v86
	v_dual_dot2acc_f32_f16 v17, v0, v87 :: v_dual_dot2acc_f32_f16 v66, v1, v9
	v_dual_dot2acc_f32_f16 v55, v1, v84 :: v_dual_dot2acc_f32_f16 v28, v2, v10
	v_dot2acc_f32_f16 v54, v1, v85
	v_dot2acc_f32_f16 v20, v1, v86
	v_dual_dot2acc_f32_f16 v21, v1, v87 :: v_dual_dot2acc_f32_f16 v78, v3, v8
	v_dot2acc_f32_f16 v50, v2, v84
	v_dual_dot2acc_f32_f16 v51, v2, v85 :: v_dual_dot2acc_f32_f16 v22, v1, v10
	v_dual_dot2acc_f32_f16 v25, v2, v86 :: v_dual_dot2acc_f32_f16 v24, v3, v11
	;; [unrolled: 1-line block ×3, first 2 shown]
	v_dot2acc_f32_f16 v34, v2, v11
	v_dot2acc_f32_f16 v48, v3, v85
	ds_load_b128 v[12:15], v81 offset:20992
	v_dual_dot2acc_f32_f16 v31, v3, v87 :: v_dual_dot2acc_f32_f16 v72, v0, v9
	ds_load_b128 v[84:87], v81 offset:21248
	v_dot2acc_f32_f16 v73, v0, v8
	v_dot2acc_f32_f16 v19, v0, v11
	;; [unrolled: 1-line block ×8, first 2 shown]
	ds_load_b128 v[0:3], v80 offset:4864
	ds_load_b128 v[8:11], v81 offset:21504
	s_waitcnt lgkmcnt(3)
	v_dot2acc_f32_f16 v69, v4, v12
	v_dot2acc_f32_f16 v70, v4, v13
	;; [unrolled: 1-line block ×3, first 2 shown]
	s_waitcnt lgkmcnt(2)
	v_dual_dot2acc_f32_f16 v74, v5, v85 :: v_dual_dot2acc_f32_f16 v47, v4, v15
	v_dot2acc_f32_f16 v42, v5, v86
	v_dot2acc_f32_f16 v62, v5, v12
	v_dot2acc_f32_f16 v64, v5, v13
	v_dot2acc_f32_f16 v40, v5, v14
	v_dual_dot2acc_f32_f16 v41, v5, v15 :: v_dual_dot2acc_f32_f16 v68, v6, v85
	v_dot2acc_f32_f16 v56, v6, v12
	v_dual_dot2acc_f32_f16 v57, v6, v13 :: v_dual_dot2acc_f32_f16 v32, v7, v86
	v_dual_dot2acc_f32_f16 v35, v6, v14 :: v_dual_dot2acc_f32_f16 v60, v7, v85
	;; [unrolled: 1-line block ×5, first 2 shown]
	v_dot2acc_f32_f16 v29, v7, v15
	v_dot2acc_f32_f16 v77, v4, v84
	;; [unrolled: 1-line block ×10, first 2 shown]
	ds_load_b128 v[4:7], v80 offset:5120
	s_waitcnt lgkmcnt(2)
	v_dot2acc_f32_f16 v18, v0, v86
	v_dot2acc_f32_f16 v58, v0, v12
	v_dual_dot2acc_f32_f16 v59, v0, v13 :: v_dual_dot2acc_f32_f16 v30, v3, v14
	v_dot2acc_f32_f16 v16, v0, v14
	v_dual_dot2acc_f32_f16 v17, v0, v15 :: v_dual_dot2acc_f32_f16 v66, v1, v85
	v_dual_dot2acc_f32_f16 v55, v1, v12 :: v_dual_dot2acc_f32_f16 v28, v2, v86
	v_dot2acc_f32_f16 v54, v1, v13
	v_dot2acc_f32_f16 v20, v1, v14
	v_dual_dot2acc_f32_f16 v21, v1, v15 :: v_dual_dot2acc_f32_f16 v78, v3, v84
	v_dot2acc_f32_f16 v50, v2, v12
	v_dual_dot2acc_f32_f16 v51, v2, v13 :: v_dual_dot2acc_f32_f16 v22, v1, v86
	v_dual_dot2acc_f32_f16 v25, v2, v14 :: v_dual_dot2acc_f32_f16 v24, v3, v87
	;; [unrolled: 1-line block ×3, first 2 shown]
	v_dot2acc_f32_f16 v34, v2, v87
	v_dot2acc_f32_f16 v48, v3, v13
	s_waitcnt lgkmcnt(0)
	v_dual_dot2acc_f32_f16 v31, v3, v15 :: v_dual_dot2acc_f32_f16 v70, v4, v9
	v_dual_dot2acc_f32_f16 v73, v0, v84 :: v_dual_dot2acc_f32_f16 v64, v5, v9
	v_dot2acc_f32_f16 v72, v0, v85
	v_dual_dot2acc_f32_f16 v19, v0, v87 :: v_dual_dot2acc_f32_f16 v62, v5, v8
	v_dual_dot2acc_f32_f16 v67, v1, v84 :: v_dual_dot2acc_f32_f16 v46, v4, v10
	;; [unrolled: 1-line block ×7, first 2 shown]
	ds_load_b128 v[0:3], v80 offset:5376
	ds_load_b128 v[84:87], v80 offset:5632
	v_dual_dot2acc_f32_f16 v69, v4, v8 :: v_dual_dot2acc_f32_f16 v74, v5, v89
	v_dual_dot2acc_f32_f16 v47, v4, v11 :: v_dual_dot2acc_f32_f16 v42, v5, v90
	;; [unrolled: 1-line block ×5, first 2 shown]
	v_dot2acc_f32_f16 v37, v6, v11
	v_dual_dot2acc_f32_f16 v53, v7, v9 :: v_dual_dot2acc_f32_f16 v36, v6, v90
	v_dual_dot2acc_f32_f16 v27, v7, v10 :: v_dual_dot2acc_f32_f16 v38, v6, v91
	v_dot2acc_f32_f16 v29, v7, v11
	v_dot2acc_f32_f16 v77, v4, v88
	s_waitcnt lgkmcnt(1)
	v_dual_dot2acc_f32_f16 v45, v4, v91 :: v_dual_dot2acc_f32_f16 v20, v1, v10
	v_dual_dot2acc_f32_f16 v75, v5, v88 :: v_dual_dot2acc_f32_f16 v26, v2, v11
	;; [unrolled: 1-line block ×6, first 2 shown]
	v_dot2acc_f32_f16 v58, v0, v8
	v_dual_dot2acc_f32_f16 v59, v0, v9 :: v_dual_dot2acc_f32_f16 v30, v3, v10
	v_dot2acc_f32_f16 v16, v0, v10
	v_dual_dot2acc_f32_f16 v17, v0, v11 :: v_dual_dot2acc_f32_f16 v66, v1, v89
	v_dual_dot2acc_f32_f16 v55, v1, v8 :: v_dual_dot2acc_f32_f16 v28, v2, v90
	v_dot2acc_f32_f16 v54, v1, v9
	v_dual_dot2acc_f32_f16 v21, v1, v11 :: v_dual_dot2acc_f32_f16 v78, v3, v88
	v_dual_dot2acc_f32_f16 v51, v2, v9 :: v_dual_dot2acc_f32_f16 v22, v1, v90
	;; [unrolled: 1-line block ×4, first 2 shown]
	ds_load_b128 v[12:15], v81 offset:22016
	ds_load_b128 v[4:7], v81 offset:22272
	v_dot2acc_f32_f16 v31, v3, v11
	ds_load_b128 v[8:11], v80 offset:5888
	v_dot2acc_f32_f16 v73, v0, v88
	v_dot2acc_f32_f16 v19, v0, v91
	;; [unrolled: 1-line block ×8, first 2 shown]
	ds_load_b128 v[0:3], v80 offset:6144
	v_add_nc_u32_e32 v83, s27, v83
	s_waitcnt lgkmcnt(2)
	v_dual_dot2acc_f32_f16 v69, v84, v12 :: v_dual_dot2acc_f32_f16 v74, v85, v5
	v_dot2acc_f32_f16 v70, v84, v13
	v_dot2acc_f32_f16 v46, v84, v14
	v_dual_dot2acc_f32_f16 v47, v84, v15 :: v_dual_dot2acc_f32_f16 v42, v85, v6
	s_waitcnt lgkmcnt(1)
	v_dual_dot2acc_f32_f16 v77, v84, v4 :: v_dual_dot2acc_f32_f16 v54, v9, v13
	v_dot2acc_f32_f16 v76, v84, v5
	v_dot2acc_f32_f16 v44, v84, v6
	v_dual_dot2acc_f32_f16 v45, v84, v7 :: v_dual_dot2acc_f32_f16 v20, v9, v14
	v_dot2acc_f32_f16 v66, v9, v5
	v_mul_lo_u32 v84, v83, s30
	v_dot2acc_f32_f16 v75, v85, v4
	v_dot2acc_f32_f16 v62, v85, v12
	;; [unrolled: 1-line block ×4, first 2 shown]
	v_dual_dot2acc_f32_f16 v41, v85, v15 :: v_dual_dot2acc_f32_f16 v68, v86, v5
	v_dot2acc_f32_f16 v56, v86, v12
	v_dual_dot2acc_f32_f16 v57, v86, v13 :: v_dual_dot2acc_f32_f16 v32, v87, v6
	v_dual_dot2acc_f32_f16 v35, v86, v14 :: v_dual_dot2acc_f32_f16 v60, v87, v5
	;; [unrolled: 1-line block ×7, first 2 shown]
	v_mad_u64_u32 v[85:86], null, v82, s31, v[84:85]
	v_dot2acc_f32_f16 v52, v87, v12
	v_dual_dot2acc_f32_f16 v29, v87, v15 :: v_dual_dot2acc_f32_f16 v16, v8, v14
	v_dual_dot2acc_f32_f16 v65, v87, v4 :: v_dual_dot2acc_f32_f16 v26, v10, v15
	v_dual_dot2acc_f32_f16 v33, v87, v7 :: v_dual_dot2acc_f32_f16 v72, v8, v5
	v_dual_dot2acc_f32_f16 v59, v8, v13 :: v_dual_dot2acc_f32_f16 v30, v11, v14
	v_dot2acc_f32_f16 v17, v8, v15
	v_dual_dot2acc_f32_f16 v55, v9, v12 :: v_dual_dot2acc_f32_f16 v18, v8, v6
	v_dual_dot2acc_f32_f16 v21, v9, v15 :: v_dual_dot2acc_f32_f16 v28, v10, v6
	;; [unrolled: 1-line block ×5, first 2 shown]
	v_dual_dot2acc_f32_f16 v31, v11, v15 :: v_dual_add_nc_u32 v84, s30, v85
	ds_load_b128 v[12:15], v81 offset:22528
	v_dual_dot2acc_f32_f16 v73, v8, v4 :: v_dual_dot2acc_f32_f16 v24, v11, v7
	v_dual_dot2acc_f32_f16 v19, v8, v7 :: v_dual_lshlrev_b32 v8, 1, v85
	v_dot2acc_f32_f16 v67, v9, v4
	v_dot2acc_f32_f16 v23, v9, v7
	;; [unrolled: 1-line block ×4, first 2 shown]
	buffer_load_b64 v[88:89], v8, s[40:43], 0 offen
	v_add_lshl_u32 v8, v85, s0, 1
	v_dot2acc_f32_f16 v79, v11, v5
	v_dot2acc_f32_f16 v39, v11, v6
	buffer_load_b64 v[90:91], v8, s[40:43], 0 offen
	ds_load_b128 v[4:7], v81 offset:22784
	ds_load_b128 v[8:11], v80 offset:6400
	v_lshlrev_b32_e32 v85, 1, v84
	s_waitcnt lgkmcnt(2)
	v_dot2acc_f32_f16 v69, v0, v12
	v_dot2acc_f32_f16 v70, v0, v13
	;; [unrolled: 1-line block ×3, first 2 shown]
	v_dual_dot2acc_f32_f16 v47, v0, v15 :: v_dual_dot2acc_f32_f16 v52, v3, v12
	v_dot2acc_f32_f16 v41, v1, v15
	v_dual_dot2acc_f32_f16 v62, v1, v12 :: v_dual_dot2acc_f32_f16 v29, v3, v15
	v_dot2acc_f32_f16 v64, v1, v13
	v_dot2acc_f32_f16 v40, v1, v14
	v_dot2acc_f32_f16 v56, v2, v12
	v_dot2acc_f32_f16 v57, v2, v13
	v_dot2acc_f32_f16 v35, v2, v14
	v_dot2acc_f32_f16 v53, v3, v13
	s_waitcnt lgkmcnt(1)
	v_dual_dot2acc_f32_f16 v27, v3, v14 :: v_dual_dot2acc_f32_f16 v68, v2, v5
	v_dot2acc_f32_f16 v76, v0, v5
	buffer_load_b64 v[92:93], v85, s[40:43], 0 offen
	v_add_lshl_u32 v85, v84, s0, 1
	v_add_nc_u32_e32 v84, s30, v84
	v_dual_dot2acc_f32_f16 v77, v0, v4 :: v_dual_dot2acc_f32_f16 v38, v2, v7
	v_dot2acc_f32_f16 v44, v0, v6
	buffer_load_b64 v[94:95], v85, s[40:43], 0 offen
	v_dual_dot2acc_f32_f16 v32, v3, v6 :: v_dual_lshlrev_b32 v85, 1, v84
	s_waitcnt lgkmcnt(0)
	v_dual_dot2acc_f32_f16 v45, v0, v7 :: v_dual_dot2acc_f32_f16 v54, v9, v13
	v_add_lshl_u32 v0, v84, s0, 1
	buffer_load_b64 v[96:97], v85, s[40:43], 0 offen
	v_dual_dot2acc_f32_f16 v37, v2, v15 :: v_dual_add_nc_u32 v84, s30, v84
	v_dot2acc_f32_f16 v48, v11, v13
	buffer_load_b64 v[98:99], v0, s[40:43], 0 offen
	v_dual_dot2acc_f32_f16 v75, v1, v4 :: v_dual_dot2acc_f32_f16 v16, v8, v14
	v_lshlrev_b32_e32 v85, 1, v84
	v_dot2acc_f32_f16 v58, v8, v12
	v_dual_dot2acc_f32_f16 v59, v8, v13 :: v_dual_dot2acc_f32_f16 v30, v11, v14
	v_dual_dot2acc_f32_f16 v17, v8, v15 :: v_dual_dot2acc_f32_f16 v66, v9, v5
	buffer_load_b64 v[100:101], v85, s[40:43], 0 offen
	v_add_lshl_u32 v85, v84, s0, 1
	v_dual_dot2acc_f32_f16 v55, v9, v12 :: v_dual_dot2acc_f32_f16 v72, v8, v5
	v_dual_dot2acc_f32_f16 v21, v9, v15 :: v_dual_dot2acc_f32_f16 v18, v8, v6
	buffer_load_b64 v[102:103], v85, s[40:43], 0 offen
	v_mad_u64_u32 v[85:86], null, s30, 61, v[84:85]
	v_dot2acc_f32_f16 v33, v3, v7
	v_dual_dot2acc_f32_f16 v73, v8, v4 :: v_dual_dot2acc_f32_f16 v34, v10, v7
	v_dual_dot2acc_f32_f16 v19, v8, v7 :: v_dual_dot2acc_f32_f16 v74, v1, v5
	v_dot2acc_f32_f16 v42, v1, v6
	v_lshlrev_b32_e32 v84, 1, v85
	v_add_lshl_u32 v8, v85, s0, 1
	v_dual_dot2acc_f32_f16 v43, v1, v7 :: v_dual_dot2acc_f32_f16 v50, v10, v12
	v_dual_dot2acc_f32_f16 v71, v2, v4 :: v_dual_dot2acc_f32_f16 v20, v9, v14
	s_clause 0x1
	buffer_load_b64 v[104:105], v84, s[40:43], 0 offen
	buffer_load_b64 v[106:107], v8, s[40:43], 0 offen
	v_dual_dot2acc_f32_f16 v36, v2, v6 :: v_dual_dot2acc_f32_f16 v65, v3, v4
	v_dot2acc_f32_f16 v26, v10, v15
	v_dot2acc_f32_f16 v60, v3, v5
	ds_load_b128 v[0:3], v80 offset:6656
	v_dual_dot2acc_f32_f16 v51, v10, v13 :: v_dual_dot2acc_f32_f16 v22, v9, v6
	v_dual_dot2acc_f32_f16 v25, v10, v14 :: v_dual_dot2acc_f32_f16 v78, v11, v4
	;; [unrolled: 1-line block ×3, first 2 shown]
	v_dual_dot2acc_f32_f16 v31, v11, v15 :: v_dual_add_nc_u32 v84, s30, v85
	ds_load_b128 v[12:15], v81 offset:23040
	v_dual_dot2acc_f32_f16 v67, v9, v4 :: v_dual_dot2acc_f32_f16 v24, v11, v7
	v_dot2acc_f32_f16 v23, v9, v7
	v_dot2acc_f32_f16 v63, v10, v4
	;; [unrolled: 1-line block ×5, first 2 shown]
	ds_load_b128 v[4:7], v81 offset:23296
	ds_load_b128 v[8:11], v80 offset:6912
	v_lshlrev_b32_e32 v85, 1, v84
	s_waitcnt lgkmcnt(2)
	v_dot2acc_f32_f16 v47, v0, v15
	v_dot2acc_f32_f16 v69, v0, v12
	v_dot2acc_f32_f16 v70, v0, v13
	v_dual_dot2acc_f32_f16 v46, v0, v14 :: v_dual_dot2acc_f32_f16 v57, v2, v13
	v_dot2acc_f32_f16 v62, v1, v12
	v_dot2acc_f32_f16 v64, v1, v13
	;; [unrolled: 1-line block ×3, first 2 shown]
	s_waitcnt lgkmcnt(1)
	v_dot2acc_f32_f16 v44, v0, v6
	v_dot2acc_f32_f16 v76, v0, v5
	buffer_load_b64 v[108:109], v85, s[40:43], 0 offen
	v_add_lshl_u32 v85, v84, s0, 1
	v_add_nc_u32_e32 v84, s30, v84
	v_dual_dot2acc_f32_f16 v68, v2, v5 :: v_dual_dot2acc_f32_f16 v77, v0, v4
	v_dot2acc_f32_f16 v32, v3, v6
	buffer_load_b64 v[110:111], v85, s[40:43], 0 offen
	v_lshlrev_b32_e32 v85, 1, v84
	s_waitcnt lgkmcnt(0)
	v_dual_dot2acc_f32_f16 v45, v0, v7 :: v_dual_dot2acc_f32_f16 v54, v9, v13
	v_add_lshl_u32 v0, v84, s0, 1
	v_dual_dot2acc_f32_f16 v29, v3, v15 :: v_dual_add_nc_u32 v84, s30, v84
	buffer_load_b64 v[112:113], v85, s[40:43], 0 offen
	v_dot2acc_f32_f16 v48, v11, v13
	buffer_load_b64 v[114:115], v0, s[40:43], 0 offen
	v_dual_dot2acc_f32_f16 v41, v1, v15 :: v_dual_dot2acc_f32_f16 v52, v3, v12
	v_lshlrev_b32_e32 v85, 1, v84
	v_add_lshl_u32 v84, v84, s0, 1
	v_dot2acc_f32_f16 v56, v2, v12
	v_dual_dot2acc_f32_f16 v35, v2, v14 :: v_dual_dot2acc_f32_f16 v60, v3, v5
	s_clause 0x1
	buffer_load_b64 v[116:117], v85, s[40:43], 0 offen
	buffer_load_b64 v[118:119], v84, s[40:43], 0 offen
	v_dual_dot2acc_f32_f16 v37, v2, v15 :: v_dual_dot2acc_f32_f16 v42, v1, v6
	v_dual_dot2acc_f32_f16 v53, v3, v13 :: v_dual_dot2acc_f32_f16 v36, v2, v6
	;; [unrolled: 1-line block ×4, first 2 shown]
	v_dot2acc_f32_f16 v74, v1, v5
	v_dual_dot2acc_f32_f16 v43, v1, v7 :: v_dual_dot2acc_f32_f16 v58, v8, v12
	v_dual_dot2acc_f32_f16 v71, v2, v4 :: v_dual_dot2acc_f32_f16 v20, v9, v14
	;; [unrolled: 1-line block ×4, first 2 shown]
	ds_load_b128 v[0:3], v80 offset:7168
	v_dual_dot2acc_f32_f16 v59, v8, v13 :: v_dual_dot2acc_f32_f16 v30, v11, v14
	v_dual_dot2acc_f32_f16 v17, v8, v15 :: v_dual_dot2acc_f32_f16 v66, v9, v5
	;; [unrolled: 1-line block ×7, first 2 shown]
	ds_load_b128 v[84:87], v81 offset:23552
	v_dual_dot2acc_f32_f16 v73, v8, v4 :: v_dual_dot2acc_f32_f16 v34, v10, v7
	v_dot2acc_f32_f16 v19, v8, v7
	v_dual_dot2acc_f32_f16 v67, v9, v4 :: v_dual_dot2acc_f32_f16 v24, v11, v7
	v_dot2acc_f32_f16 v23, v9, v7
	v_dot2acc_f32_f16 v63, v10, v4
	;; [unrolled: 1-line block ×5, first 2 shown]
	ds_load_b128 v[4:7], v80 offset:7424
	v_dot2acc_f32_f16 v31, v11, v15
	ds_load_b128 v[12:15], v81 offset:23808
	ds_load_b128 v[8:11], v81 offset:24064
	v_cmp_gt_i32_e64 s0, s14, v83
	s_waitcnt lgkmcnt(3)
	v_dot2acc_f32_f16 v69, v0, v84
	v_dot2acc_f32_f16 v70, v0, v85
	;; [unrolled: 1-line block ×3, first 2 shown]
	v_dual_dot2acc_f32_f16 v47, v0, v87 :: v_dual_dot2acc_f32_f16 v52, v3, v84
	v_dot2acc_f32_f16 v62, v1, v84
	v_dot2acc_f32_f16 v64, v1, v85
	;; [unrolled: 1-line block ×3, first 2 shown]
	v_dual_dot2acc_f32_f16 v41, v1, v87 :: v_dual_dot2acc_f32_f16 v56, v2, v84
	v_dot2acc_f32_f16 v57, v2, v85
	v_dot2acc_f32_f16 v35, v2, v86
	s_waitcnt lgkmcnt(1)
	v_dual_dot2acc_f32_f16 v37, v2, v87 :: v_dual_dot2acc_f32_f16 v32, v3, v14
	v_dual_dot2acc_f32_f16 v53, v3, v85 :: v_dual_dot2acc_f32_f16 v36, v2, v14
	;; [unrolled: 1-line block ×5, first 2 shown]
	v_dot2acc_f32_f16 v76, v0, v13
	v_dot2acc_f32_f16 v44, v0, v14
	v_dual_dot2acc_f32_f16 v45, v0, v15 :: v_dual_dot2acc_f32_f16 v54, v5, v85
	v_dual_dot2acc_f32_f16 v75, v1, v12 :: v_dual_dot2acc_f32_f16 v16, v4, v86
	v_dot2acc_f32_f16 v74, v1, v13
	v_dot2acc_f32_f16 v42, v1, v14
	v_dual_dot2acc_f32_f16 v43, v1, v15 :: v_dual_dot2acc_f32_f16 v50, v6, v84
	v_dual_dot2acc_f32_f16 v71, v2, v12 :: v_dual_dot2acc_f32_f16 v20, v5, v86
	;; [unrolled: 1-line block ×3, first 2 shown]
	v_dot2acc_f32_f16 v60, v3, v13
	v_dual_dot2acc_f32_f16 v33, v3, v15 :: v_dual_dot2acc_f32_f16 v72, v4, v13
	ds_load_b128 v[0:3], v80 offset:7680
	v_dual_dot2acc_f32_f16 v59, v4, v85 :: v_dual_dot2acc_f32_f16 v30, v7, v86
	v_dual_dot2acc_f32_f16 v17, v4, v87 :: v_dual_dot2acc_f32_f16 v48, v7, v85
	;; [unrolled: 1-line block ×7, first 2 shown]
	v_dot2acc_f32_f16 v31, v7, v87
	ds_load_b128 v[84:87], v81 offset:24320
	v_dual_dot2acc_f32_f16 v73, v4, v12 :: v_dual_dot2acc_f32_f16 v24, v7, v15
	v_dual_dot2acc_f32_f16 v19, v4, v15 :: v_dual_dot2acc_f32_f16 v78, v7, v12
	v_dot2acc_f32_f16 v67, v5, v12
	v_dot2acc_f32_f16 v23, v5, v15
	;; [unrolled: 1-line block ×6, first 2 shown]
	ds_load_b128 v[4:7], v80 offset:7936
	s_waitcnt lgkmcnt(2)
	v_dual_dot2acc_f32_f16 v62, v1, v8 :: v_dual_add_nc_u32 v15, 64, v82
	s_and_b32 s1, s0, vcc_lo
	v_dot2acc_f32_f16 v69, v0, v8
	v_dot2acc_f32_f16 v70, v0, v9
	;; [unrolled: 1-line block ×3, first 2 shown]
	v_dual_dot2acc_f32_f16 v47, v0, v11 :: v_dual_dot2acc_f32_f16 v52, v3, v8
	s_waitcnt lgkmcnt(1)
	v_dual_dot2acc_f32_f16 v41, v1, v11 :: v_dual_dot2acc_f32_f16 v44, v0, v86
	v_dual_dot2acc_f32_f16 v77, v0, v84 :: v_dual_dot2acc_f32_f16 v38, v2, v87
	v_dot2acc_f32_f16 v76, v0, v85
	v_dual_dot2acc_f32_f16 v45, v0, v87 :: v_dual_dot2acc_f32_f16 v56, v2, v8
	v_dual_dot2acc_f32_f16 v57, v2, v9 :: v_dual_dot2acc_f32_f16 v42, v1, v86
	;; [unrolled: 1-line block ×6, first 2 shown]
	s_waitcnt lgkmcnt(0)
	v_dual_dot2acc_f32_f16 v71, v2, v84 :: v_dual_dot2acc_f32_f16 v20, v5, v10
	v_or_b32_e32 v81, 1, v83
	v_dot2acc_f32_f16 v64, v1, v9
	v_dual_dot2acc_f32_f16 v40, v1, v10 :: v_dual_dot2acc_f32_f16 v29, v3, v11
	v_dot2acc_f32_f16 v58, v4, v8
	v_dual_dot2acc_f32_f16 v75, v1, v84 :: v_dual_dot2acc_f32_f16 v16, v4, v10
	;; [unrolled: 2-line block ×3, first 2 shown]
	v_dual_dot2acc_f32_f16 v65, v3, v84 :: v_dual_dot2acc_f32_f16 v26, v6, v11
	v_dual_dot2acc_f32_f16 v33, v3, v87 :: v_dual_dot2acc_f32_f16 v72, v4, v85
	;; [unrolled: 1-line block ×10, first 2 shown]
	s_waitcnt vmcnt(15)
	v_cndmask_b32_e64 v12, 0, v89, s1
	v_cndmask_b32_e64 v0, 0, v88, s1
	v_cmp_gt_i32_e64 s1, s25, v15
	v_dual_dot2acc_f32_f16 v49, v7, v8 :: v_dual_dot2acc_f32_f16 v34, v6, v87
	v_or_b32_e32 v88, 3, v83
	s_delay_alu instid0(VALU_DEP_4) | instskip(NEXT) | instid1(VALU_DEP_4)
	v_lshrrev_b32_e32 v1, 16, v0
	s_and_b32 s0, s0, s1
	v_cvt_f32_f16_e32 v0, v0
	s_waitcnt vmcnt(14)
	v_cndmask_b32_e64 v2, 0, v90, s0
	v_cndmask_b32_e64 v80, 0, v91, s0
	v_cmp_gt_i32_e64 s0, s14, v81
	v_dual_dot2acc_f32_f16 v31, v7, v11 :: v_dual_add_f32 v0, v69, v0
	s_delay_alu instid0(VALU_DEP_4) | instskip(SKIP_1) | instid1(VALU_DEP_4)
	v_cvt_f32_f16_e32 v3, v2
	v_lshrrev_b32_e32 v2, 16, v2
	s_and_b32 s2, s0, vcc_lo
	s_delay_alu instid0(VALU_DEP_3) | instskip(SKIP_1) | instid1(VALU_DEP_3)
	v_dual_dot2acc_f32_f16 v23, v5, v87 :: v_dual_max_f32 v14, 0, v0
	v_cvt_f32_f16_e32 v1, v1
	v_cvt_f32_f16_e32 v2, v2
	v_dot2acc_f32_f16 v63, v6, v84
	s_and_b32 s0, s0, s1
	v_add_f32_e32 v3, v77, v3
	s_delay_alu instid0(VALU_DEP_3)
	v_dual_add_f32 v1, v70, v1 :: v_dual_add_f32 v0, v76, v2
	v_dot2acc_f32_f16 v67, v5, v84
	v_dot2acc_f32_f16 v61, v6, v85
	s_waitcnt vmcnt(13)
	v_cndmask_b32_e64 v4, 0, v92, s2
	v_max_f32_e32 v70, 0, v1
	v_dual_max_f32 v84, 0, v0 :: v_dual_max_f32 v77, 0, v3
	v_cndmask_b32_e64 v69, 0, v93, s2
	s_delay_alu instid0(VALU_DEP_4)
	v_cvt_f32_f16_e32 v0, v4
	s_waitcnt vmcnt(12)
	v_cndmask_b32_e64 v2, 0, v94, s0
	v_lshrrev_b32_e32 v1, 16, v4
	v_cndmask_b32_e64 v76, 0, v95, s0
	v_dot2acc_f32_f16 v54, v5, v9
	v_dual_add_f32 v0, v62, v0 :: v_dual_dot2acc_f32_f16 v79, v7, v85
	v_or_b32_e32 v85, 2, v83
	v_cvt_f32_f16_e32 v3, v2
	v_lshrrev_b32_e32 v2, 16, v2
	v_cvt_f32_f16_e32 v1, v1
	v_add_nc_u32_e32 v10, 0x42, v83
	v_cmp_gt_i32_e64 s0, s14, v85
	v_add_f32_e32 v3, v75, v3
	v_cvt_f32_f16_e32 v2, v2
	v_dual_add_f32 v1, v64, v1 :: v_dual_max_f32 v64, 0, v0
	s_delay_alu instid0(VALU_DEP_4)
	s_and_b32 s2, s0, vcc_lo
	s_and_b32 s0, s0, s1
	s_waitcnt vmcnt(11)
	v_cndmask_b32_e64 v4, 0, v96, s2
	v_add_f32_e32 v0, v74, v2
	s_waitcnt vmcnt(10)
	v_cndmask_b32_e64 v2, 0, v98, s0
	v_dual_dot2acc_f32_f16 v39, v7, v86 :: v_dual_max_f32 v86, 0, v3
	v_max_f32_e32 v75, 0, v1
	v_lshrrev_b32_e32 v1, 16, v4
	v_max_f32_e32 v87, 0, v0
	v_cvt_f32_f16_e32 v0, v4
	v_cvt_f32_f16_e32 v3, v2
	v_lshrrev_b32_e32 v2, 16, v2
	v_cvt_f32_f16_e32 v1, v1
	v_cndmask_b32_e64 v74, 0, v99, s0
	v_add_f32_e32 v0, v56, v0
	v_cmp_gt_i32_e64 s0, s14, v88
	v_cvt_f32_f16_e32 v2, v2
	v_add_f32_e32 v1, v57, v1
	v_cndmask_b32_e64 v62, 0, v97, s2
	v_max_f32_e32 v57, 0, v0
	s_and_b32 s2, s0, vcc_lo
	v_add_f32_e32 v0, v68, v2
	s_and_b32 s0, s0, s1
	v_add_f32_e32 v3, v71, v3
	s_waitcnt vmcnt(9)
	v_cndmask_b32_e64 v4, 0, v100, s2
	s_waitcnt vmcnt(8)
	v_cndmask_b32_e64 v2, 0, v102, s0
	v_max_f32_e32 v90, 0, v0
	v_add_nc_u32_e32 v0, 64, v83
	v_cndmask_b32_e64 v68, 0, v103, s0
	v_max_f32_e32 v71, 0, v1
	v_max_f32_e32 v89, 0, v3
	v_lshrrev_b32_e32 v1, 16, v4
	v_cmp_gt_i32_e64 s0, s14, v0
	v_cvt_f32_f16_e32 v3, v4
	v_cvt_f32_f16_e32 v4, v2
	v_lshrrev_b32_e32 v2, 16, v2
	v_cndmask_b32_e64 v56, 0, v101, s2
	s_and_b32 s2, s0, vcc_lo
	v_add_f32_e32 v3, v52, v3
	s_waitcnt vmcnt(7)
	v_cndmask_b32_e64 v6, 0, v104, s2
	v_cvt_f32_f16_e32 v2, v2
	s_and_b32 s0, s0, s1
	v_cvt_f32_f16_e32 v1, v1
	v_add_f32_e32 v4, v65, v4
	v_max_f32_e32 v52, 0, v3
	v_add_f32_e32 v2, v60, v2
	v_lshrrev_b32_e32 v3, 16, v6
	s_waitcnt vmcnt(6)
	v_cndmask_b32_e64 v7, 0, v106, s0
	v_dual_max_f32 v65, 0, v4 :: v_dual_add_nc_u32 v4, 0x41, v83
	v_max_f32_e32 v60, 0, v2
	v_cvt_f32_f16_e32 v2, v6
	v_cvt_f32_f16_e32 v3, v3
	v_add_f32_e32 v5, v53, v1
	v_cvt_f32_f16_e32 v6, v7
	v_cndmask_b32_e64 v1, 0, v105, s2
	v_add_f32_e32 v2, v58, v2
	v_add_f32_e32 v8, v59, v3
	v_lshrrev_b32_e32 v7, 16, v7
	v_dual_add_f32 v6, v73, v6 :: v_dual_max_f32 v53, 0, v5
	v_cndmask_b32_e64 v5, 0, v107, s0
	v_cmp_gt_i32_e64 s0, s14, v4
	v_dual_max_f32 v3, 0, v2 :: v_dual_max_f32 v2, 0, v8
	v_cvt_f32_f16_e32 v7, v7
	v_max_f32_e32 v6, 0, v6
	s_delay_alu instid0(VALU_DEP_4)
	s_and_b32 s2, s0, vcc_lo
	s_and_b32 s0, s0, s1
	s_waitcnt vmcnt(5)
	v_cndmask_b32_e64 v9, 0, v108, s2
	v_cndmask_b32_e64 v58, 0, v109, s2
	v_cvt_f16_f32_e32 v6, v6
	v_cvt_f16_f32_e32 v2, v2
	s_delay_alu instid0(VALU_DEP_4)
	v_lshrrev_b32_e32 v8, 16, v9
	v_cvt_f32_f16_e32 v11, v9
	s_waitcnt vmcnt(4)
	v_cndmask_b32_e64 v13, 0, v110, s0
	v_cndmask_b32_e64 v9, 0, v111, s0
	v_cmp_gt_i32_e64 s0, s14, v10
	v_cvt_f32_f16_e32 v8, v8
	v_add_f32_e32 v11, v55, v11
	v_lshrrev_b32_e32 v55, 16, v13
	v_cvt_f32_f16_e32 v13, v13
	s_and_b32 s2, s0, vcc_lo
	v_add_f32_e32 v8, v54, v8
	s_and_b32 s0, s0, s1
	v_cvt_f32_f16_e32 v54, v55
	v_add_f32_e32 v7, v72, v7
	s_waitcnt vmcnt(3)
	v_cndmask_b32_e64 v72, 0, v112, s2
	v_max_f32_e32 v55, 0, v11
	v_add_f32_e32 v13, v67, v13
	v_dual_max_f32 v67, 0, v8 :: v_dual_add_f32 v8, v66, v54
	s_delay_alu instid0(VALU_DEP_4)
	v_lshrrev_b32_e32 v11, 16, v72
	s_waitcnt vmcnt(2)
	v_cndmask_b32_e64 v66, 0, v114, s0
	v_max_f32_e32 v73, 0, v13
	v_cvt_f32_f16_e32 v13, v72
	v_add_nc_u32_e32 v72, 0x43, v83
	v_cvt_f32_f16_e32 v11, v11
	v_cndmask_b32_e64 v54, 0, v115, s0
	v_cndmask_b32_e64 v59, 0, v113, s2
	v_add_f32_e32 v13, v50, v13
	v_cmp_gt_i32_e64 s0, s14, v72
	v_add_f32_e32 v11, v51, v11
	v_cvt_f32_f16_e32 v50, v66
	s_lshl_b32 s14, s15, 1
	v_max_f32_e32 v51, 0, v13
	s_and_b32 vcc_lo, s0, vcc_lo
	v_max_f32_e32 v91, 0, v11
	v_lshrrev_b32_e32 v11, 16, v66
	v_add_f32_e32 v13, v63, v50
	s_waitcnt vmcnt(1)
	v_dual_cndmask_b32 v63, 0, v116 :: v_dual_cndmask_b32 v50, 0, v117
	s_and_b32 vcc_lo, s0, s1
	v_cvt_f32_f16_e32 v11, v11
	s_waitcnt vmcnt(0)
	v_cndmask_b32_e32 v92, 0, v118, vcc_lo
	v_cvt_f32_f16_e32 v93, v63
	v_cndmask_b32_e32 v66, 0, v119, vcc_lo
	v_cmp_gt_i32_e32 vcc_lo, s24, v82
	v_add_f32_e32 v11, v61, v11
	v_lshrrev_b32_e32 v61, 16, v63
	v_max_f32_e32 v63, 0, v13
	v_lshrrev_b32_e32 v13, 16, v92
	v_add_f32_e32 v49, v49, v93
	v_max_f32_e32 v93, 0, v11
	v_cvt_f32_f16_e32 v11, v61
	v_cvt_f32_f16_e32 v61, v92
	v_lshrrev_b32_e32 v92, 16, v12
	v_cvt_f32_f16_e32 v13, v13
	v_cvt_f32_f16_e32 v12, v12
	s_delay_alu instid0(VALU_DEP_4) | instskip(NEXT) | instid1(VALU_DEP_4)
	v_dual_add_f32 v48, v48, v11 :: v_dual_add_f32 v61, v78, v61
	v_cvt_f32_f16_e32 v78, v92
	v_mul_lo_u32 v11, v83, s10
	s_delay_alu instid0(VALU_DEP_4) | instskip(SKIP_1) | instid1(VALU_DEP_4)
	v_dual_add_f32 v13, v79, v13 :: v_dual_add_f32 v46, v46, v12
	v_cmp_gt_i32_e64 s1, s9, v83
	v_add_f32_e32 v47, v47, v78
	s_mov_b32 s15, s39
	s_delay_alu instid0(VALU_DEP_3)
	v_max_f32_e32 v79, 0, v13
	s_lshl_b32 s2, s11, 6
	v_mad_u64_u32 v[12:13], null, v82, s11, v[11:12]
	v_cvt_f16_f32_e32 v11, v14
	v_dual_max_f32 v13, 0, v47 :: v_dual_max_f32 v14, 0, v46
	v_cvt_f16_f32_e32 v46, v70
	s_and_b32 s0, s1, vcc_lo
	v_max_f32_e32 v48, 0, v48
	s_delay_alu instid0(VALU_DEP_3)
	v_cvt_f16_f32_e32 v47, v13
	v_cvt_f16_f32_e32 v14, v14
	v_pack_b32_f16 v13, v11, v46
	v_lshrrev_b32_e32 v11, 16, v80
	v_cndmask_b32_e64 v46, 0x80000000, 0, s0
	v_cmp_gt_i32_e64 s0, s24, v15
	v_pack_b32_f16 v14, v14, v47
	v_cvt_f32_f16_e32 v47, v80
	v_cvt_f32_f16_e32 v11, v11
	v_lshl_add_u32 v46, v12, 1, v46
	v_cvt_f16_f32_e32 v15, v84
	s_and_b32 s1, s1, s0
	v_add_f32_e32 v44, v44, v47
	v_add_f32_e32 v11, v45, v11
	buffer_store_b64 v[13:14], v46, s[12:15], 0 offen
	v_cvt_f16_f32_e32 v13, v77
	v_cvt_f32_f16_e32 v47, v76
	v_dual_max_f32 v14, 0, v44 :: v_dual_max_f32 v11, 0, v11
	v_lshrrev_b32_e32 v44, 16, v76
	s_delay_alu instid0(VALU_DEP_4) | instskip(SKIP_1) | instid1(VALU_DEP_4)
	v_pack_b32_f16 v13, v13, v15
	v_add_nc_u32_e32 v45, s2, v12
	v_cvt_f16_f32_e32 v14, v14
	v_cvt_f16_f32_e32 v11, v11
	v_cvt_f32_f16_e32 v44, v44
	v_cndmask_b32_e64 v46, 0x80000000, 0, s1
	v_cmp_gt_i32_e64 s1, s9, v81
	v_dual_max_f32 v7, 0, v7 :: v_dual_max_f32 v8, 0, v8
	s_delay_alu instid0(VALU_DEP_4)
	v_add_f32_e32 v15, v43, v44
	v_pack_b32_f16 v14, v14, v11
	v_add_f32_e32 v11, v42, v47
	v_lshrrev_b32_e32 v42, 16, v69
	v_cvt_f32_f16_e32 v69, v69
	v_max_f32_e32 v15, 0, v15
	v_lshl_add_u32 v44, v45, 1, v46
	v_max_f32_e32 v11, 0, v11
	v_cvt_f32_f16_e32 v47, v42
	v_cvt_f16_f32_e32 v43, v86
	v_cvt_f16_f32_e32 v46, v87
	;; [unrolled: 1-line block ×4, first 2 shown]
	v_dual_add_f32 v41, v41, v47 :: v_dual_add_f32 v40, v40, v69
	s_delay_alu instid0(VALU_DEP_4) | instskip(SKIP_1) | instid1(VALU_DEP_3)
	v_pack_b32_f16 v42, v43, v46
	s_and_b32 s3, s1, s0
	v_pack_b32_f16 v43, v11, v15
	s_delay_alu instid0(VALU_DEP_3)
	v_dual_max_f32 v15, 0, v41 :: v_dual_max_f32 v40, 0, v40
	s_and_b32 s1, s1, vcc_lo
	v_add_nc_u32_e32 v45, s10, v45
	v_cndmask_b32_e64 v11, 0x80000000, 0, s3
	v_add_nc_u32_e32 v41, s10, v12
	v_cvt_f16_f32_e32 v12, v64
	v_cvt_f16_f32_e32 v46, v75
	;; [unrolled: 1-line block ×4, first 2 shown]
	v_lshrrev_b32_e32 v47, 16, v62
	v_cndmask_b32_e64 v64, 0x80000000, 0, s1
	v_lshl_add_u32 v69, v45, 1, v11
	v_pack_b32_f16 v11, v12, v46
	v_pack_b32_f16 v12, v40, v15
	v_cvt_f32_f16_e32 v15, v47
	v_lshl_add_u32 v40, v41, 1, v64
	buffer_store_b64 v[13:14], v44, s[12:15], 0 offen
	v_cvt_f32_f16_e32 v13, v62
	buffer_store_b64 v[42:43], v69, s[12:15], 0 offen
	v_add_f32_e32 v14, v37, v15
	buffer_store_b64 v[11:12], v40, s[12:15], 0 offen
	v_cvt_f16_f32_e32 v12, v57
	v_add_f32_e32 v11, v35, v13
	v_cvt_f16_f32_e32 v35, v71
	v_max_f32_e32 v13, 0, v14
	v_lshrrev_b32_e32 v14, 16, v74
	v_cvt_f32_f16_e32 v37, v74
	v_max_f32_e32 v11, 0, v11
	v_cmp_gt_i32_e64 s1, s9, v85
	v_cvt_f16_f32_e32 v13, v13
	v_cvt_f32_f16_e32 v14, v14
	v_add_f32_e32 v36, v36, v37
	v_cvt_f16_f32_e32 v40, v11
	v_pack_b32_f16 v11, v12, v35
	v_lshrrev_b32_e32 v35, 16, v68
	v_add_f32_e32 v14, v38, v14
	s_and_b32 s3, s1, vcc_lo
	v_pack_b32_f16 v12, v40, v13
	v_cvt_f32_f16_e32 v40, v68
	v_cvt_f32_f16_e32 v35, v35
	v_max_f32_e32 v49, 0, v49
	v_add_nc_u32_e32 v15, s10, v41
	v_cndmask_b32_e64 v41, 0x80000000, 0, s3
	v_dual_max_f32 v13, 0, v14 :: v_dual_max_f32 v14, 0, v36
	v_dual_add_f32 v33, v33, v35 :: v_dual_add_f32 v32, v32, v40
	s_and_b32 s1, s1, s0
	s_delay_alu instid0(VALU_DEP_3)
	v_lshl_add_u32 v15, v15, 1, v41
	v_cndmask_b32_e64 v35, 0x80000000, 0, s1
	v_cmp_gt_i32_e64 s1, s9, v88
	v_cvt_f16_f32_e32 v36, v89
	v_cvt_f16_f32_e32 v37, v90
	;; [unrolled: 1-line block ×4, first 2 shown]
	v_add_nc_u32_e32 v41, s10, v45
	v_dual_max_f32 v33, 0, v33 :: v_dual_max_f32 v32, 0, v32
	s_and_b32 s3, s1, s0
	v_pack_b32_f16 v13, v36, v37
	v_pack_b32_f16 v14, v14, v38
	v_add_nc_u32_e32 v36, s10, v41
	v_cvt_f16_f32_e32 v37, v65
	v_cvt_f16_f32_e32 v38, v60
	;; [unrolled: 1-line block ×4, first 2 shown]
	v_cndmask_b32_e64 v42, 0x80000000, 0, s3
	v_lshrrev_b32_e32 v43, 16, v56
	v_lshl_add_u32 v35, v41, 1, v35
	v_pack_b32_f16 v32, v37, v38
	v_pack_b32_f16 v33, v40, v33
	v_lshl_add_u32 v37, v36, 1, v42
	v_cvt_f32_f16_e32 v38, v43
	v_cvt_f32_f16_e32 v40, v56
	s_clause 0x2
	buffer_store_b64 v[11:12], v15, s[12:15], 0 offen
	buffer_store_b64 v[13:14], v35, s[12:15], 0 offen
	;; [unrolled: 1-line block ×3, first 2 shown]
	v_lshrrev_b32_e32 v14, 16, v50
	v_max_f32_e32 v61, 0, v61
	v_dual_add_f32 v11, v29, v38 :: v_dual_add_f32 v12, v27, v40
	v_cvt_f32_f16_e32 v29, v50
	s_delay_alu instid0(VALU_DEP_4)
	v_cvt_f32_f16_e32 v14, v14
	v_subrev_nc_u32_e32 v13, s2, v36
	v_cvt_f16_f32_e32 v15, v52
	v_dual_max_f32 v11, 0, v11 :: v_dual_max_f32 v12, 0, v12
	v_cvt_f16_f32_e32 v27, v53
	v_dual_add_f32 v14, v31, v14 :: v_dual_add_f32 v29, v30, v29
	s_and_b32 s1, s1, vcc_lo
	s_delay_alu instid0(VALU_DEP_3)
	v_cvt_f16_f32_e32 v32, v11
	v_cvt_f16_f32_e32 v12, v12
	v_lshlrev_b32_e32 v33, 1, v13
	v_cndmask_b32_e64 v30, 0x80000000, 0, s1
	v_pack_b32_f16 v11, v15, v27
	v_dual_max_f32 v14, 0, v14 :: v_dual_max_f32 v15, 0, v29
	v_pack_b32_f16 v12, v12, v32
	s_delay_alu instid0(VALU_DEP_4) | instskip(SKIP_1) | instid1(VALU_DEP_4)
	v_add_nc_u32_e32 v27, v33, v30
	v_lshrrev_b32_e32 v31, 16, v66
	v_cvt_f16_f32_e32 v14, v14
	v_cvt_f16_f32_e32 v15, v15
	v_cmp_gt_i32_e64 s1, s9, v72
	buffer_store_b64 v[11:12], v27, s[12:15], 0 offen
	v_cvt_f16_f32_e32 v29, v49
	v_cvt_f16_f32_e32 v30, v48
	v_pack_b32_f16 v12, v15, v14
	v_cvt_f32_f16_e32 v14, v31
	v_cvt_f32_f16_e32 v15, v66
	s_and_b32 s3, s1, vcc_lo
	v_cvt_f32_f16_e32 v32, v54
	v_cndmask_b32_e64 v27, 0x80000000, 0, s3
	s_delay_alu instid0(VALU_DEP_3) | instskip(SKIP_2) | instid1(VALU_DEP_2)
	v_dual_add_f32 v14, v24, v14 :: v_dual_add_f32 v15, v39, v15
	s_lshl_b32 s3, s10, 7
	s_and_b32 s1, s1, s0
	v_add3_u32 v24, v27, s3, v33
	v_lshl_add_u32 v27, s4, 6, v13
	v_dual_max_f32 v13, 0, v14 :: v_dual_max_f32 v14, 0, v15
	v_lshrrev_b32_e32 v15, 16, v54
	v_pack_b32_f16 v11, v29, v30
	v_cvt_f16_f32_e32 v29, v61
	v_cvt_f16_f32_e32 v30, v79
	v_cndmask_b32_e64 v33, 0x80000000, 0, s1
	v_cvt_f32_f16_e32 v15, v15
	v_add_f32_e32 v28, v28, v32
	v_cvt_f16_f32_e32 v31, v13
	v_cvt_f16_f32_e32 v14, v14
	v_pack_b32_f16 v13, v29, v30
	v_add_f32_e32 v15, v34, v15
	v_lshl_add_u32 v29, v27, 1, v33
	v_subrev_nc_u32_e32 v30, s10, v27
	v_max_f32_e32 v27, 0, v28
	v_pack_b32_f16 v14, v14, v31
	v_max_f32_e32 v15, 0, v15
	v_cvt_f16_f32_e32 v28, v63
	v_cvt_f16_f32_e32 v31, v93
	;; [unrolled: 1-line block ×3, first 2 shown]
	v_lshrrev_b32_e32 v33, 16, v59
	v_cvt_f16_f32_e32 v15, v15
	s_clause 0x1
	buffer_store_b64 v[11:12], v24, s[12:15], 0 offen
	buffer_store_b64 v[13:14], v29, s[12:15], 0 offen
	v_pack_b32_f16 v27, v28, v31
	v_cvt_f32_f16_e32 v31, v59
	v_lshrrev_b32_e32 v24, 16, v58
	v_pack_b32_f16 v28, v32, v15
	v_cvt_f32_f16_e32 v15, v33
	v_cmp_ge_i32_e64 s1, s9, v72
	v_add_f32_e32 v12, v25, v31
	v_cvt_f16_f32_e32 v14, v51
	v_cvt_f32_f16_e32 v24, v24
	v_add_f32_e32 v11, v26, v15
	v_cvt_f16_f32_e32 v15, v91
	v_max_f32_e32 v12, 0, v12
	v_cvt_f32_f16_e32 v26, v58
	s_and_b32 s1, s1, s0
	v_max_f32_e32 v11, 0, v11
	v_cndmask_b32_e64 v34, 0x80000000, 0, s1
	v_cvt_f16_f32_e32 v12, v12
	v_cmp_gt_i32_e64 s1, s9, v10
	v_subrev_nc_u32_e32 v13, s2, v30
	v_cvt_f16_f32_e32 v25, v11
	v_pack_b32_f16 v11, v14, v15
	v_dual_add_f32 v14, v21, v24 :: v_dual_add_f32 v15, v20, v26
	v_lshl_add_u32 v32, v30, 1, v34
	s_delay_alu instid0(VALU_DEP_4) | instskip(SKIP_1) | instid1(VALU_DEP_4)
	v_pack_b32_f16 v12, v12, v25
	v_lshrrev_b32_e32 v25, 16, v9
	v_dual_max_f32 v14, 0, v14 :: v_dual_max_f32 v15, 0, v15
	s_and_b32 s1, s1, vcc_lo
	buffer_store_b64 v[27:28], v32, s[12:15], 0 offen
	v_cndmask_b32_e64 v27, 0x80000000, 0, s1
	v_cmp_ge_i32_e64 s1, s9, v10
	v_cvt_f16_f32_e32 v10, v14
	v_cvt_f16_f32_e32 v14, v15
	v_cvt_f32_f16_e32 v15, v9
	v_cvt_f32_f16_e32 v25, v25
	s_and_b32 s1, s1, vcc_lo
	v_lshl_add_u32 v20, v13, 1, v27
	v_pack_b32_f16 v10, v14, v10
	s_delay_alu instid0(VALU_DEP_3)
	v_dual_add_f32 v15, v22, v15 :: v_dual_add_f32 v14, v23, v25
	v_cndmask_b32_e64 v26, 0x80000000, 0, s1
	v_cmp_gt_i32_e64 s1, s9, v4
	v_subrev_nc_u32_e32 v13, s10, v13
	v_cvt_f16_f32_e32 v21, v55
	v_cvt_f16_f32_e32 v24, v67
	v_dual_max_f32 v14, 0, v14 :: v_dual_max_f32 v15, 0, v15
	v_lshrrev_b32_e32 v23, 16, v5
	v_cvt_f32_f16_e32 v5, v5
	s_and_b32 s1, s1, s0
	v_pack_b32_f16 v9, v21, v24
	v_lshl_add_u32 v21, v13, 1, v26
	v_add_nc_u32_e32 v22, s2, v13
	v_cvt_f16_f32_e32 v13, v73
	v_cvt_f16_f32_e32 v8, v8
	;; [unrolled: 1-line block ×4, first 2 shown]
	v_cvt_f32_f16_e32 v23, v23
	v_cndmask_b32_e64 v24, 0x80000000, 0, s1
	v_add_f32_e32 v5, v18, v5
	v_cvt_f16_f32_e32 v7, v7
	v_lshrrev_b32_e32 v18, 16, v1
	v_pack_b32_f16 v13, v13, v8
	v_pack_b32_f16 v14, v15, v14
	v_add_f32_e32 v8, v19, v23
	v_lshl_add_u32 v15, v22, 1, v24
	v_subrev_nc_u32_e32 v19, s10, v22
	v_max_f32_e32 v22, 0, v5
	v_pack_b32_f16 v5, v6, v7
	v_cvt_f32_f16_e32 v7, v18
	v_cvt_f32_f16_e32 v1, v1
	v_cmp_ge_i32_e64 s1, s9, v4
	v_cmp_gt_i32_e64 s2, s9, v0
	s_delay_alu instid0(VALU_DEP_4) | instskip(NEXT) | instid1(VALU_DEP_4)
	v_dual_max_f32 v8, 0, v8 :: v_dual_add_f32 v7, v17, v7
	v_add_f32_e32 v1, v16, v1
	s_delay_alu instid0(VALU_DEP_4)
	s_and_b32 s0, s1, s0
	v_lshlrev_b32_e32 v4, 1, v19
	v_cndmask_b32_e64 v0, 0x80000000, 0, s0
	s_and_b32 s0, s2, vcc_lo
	v_max_f32_e32 v7, 0, v7
	v_max_f32_e32 v1, 0, v1
	v_cndmask_b32_e64 v16, 0x80000000, 0, s0
	s_lshl_b32 s0, s11, 7
	v_cvt_f16_f32_e32 v6, v8
	v_cvt_f16_f32_e32 v8, v22
	;; [unrolled: 1-line block ×5, first 2 shown]
	v_subrev_nc_u32_e32 v16, s0, v16
	v_pack_b32_f16 v6, v8, v6
	v_add_nc_u32_e32 v8, v4, v0
	v_pack_b32_f16 v0, v3, v2
	v_pack_b32_f16 v1, v1, v7
	v_add_nc_u32_e32 v2, v16, v4
	s_clause 0x4
	buffer_store_b64 v[11:12], v20, s[12:15], 0 offen
	buffer_store_b64 v[9:10], v21, s[12:15], 0 offen
	;; [unrolled: 1-line block ×5, first 2 shown]
	s_nop 0
	s_sendmsg sendmsg(MSG_DEALLOC_VGPRS)
	s_endpgm
	.section	.rodata,"a",@progbits
	.p2align	6, 0x0
	.amdhsa_kernel _ZN2ck16tensor_operation6device12_GLOBAL__N_137kernel_grouped_conv_fwd_dl_multiple_dINS_32GridwiseGemmDlMultipleD_km_kn_mnILi256EDF16_fNS_5TupleIJDF16_EEEDF16_NS0_12element_wise11PassThroughES8_NS7_7AddReluELNS_25InMemoryDataOperationEnumE0ENS_16TensorDescriptorINS5_IJNS_5EmbedINS5_IJiiiiiEEESD_Lb0EEENS_11PassThroughIiEENS_3PadIiiiLb0EEESI_SI_SG_SG_NSC_INS5_IJiiEEESJ_Lb0EEESK_SK_SG_NS_23Merge_v2_magic_divisionINS5_IJiiiiEEEEESN_NS_8RightPadIiiLb0EEESP_NS_7UnMergeISJ_Lb0EEESG_EEENS5_IJNS_8SequenceIJLi0EEEENST_IJLi1EEEENST_IJLi2EEEENST_IJLi3EEEENST_IJLi4EEEENST_IJLi5EEEENST_IJLi6EEEENST_IJLi7EEEENST_IJLi8EEEENST_IJLi9EEEENST_IJLi10EEEENST_IJLi11ELi13ELi15ELi17EEEENST_IJLi12ELi14ELi16ELi18EEEENST_IJLi19EEEENST_IJLi20EEEENST_IJLi22EEEENST_IJLi21EEEEEEENS5_IJNST_IJLi1ELi2ELi3ELi4ELi5EEEES10_S11_S12_S13_S14_NST_IJLi11EEEENST_IJLi12ELi13EEEENST_IJLi14ELi15EEEENST_IJLi16ELi17EEEENST_IJLi18EEEES17_S18_S1A_S19_NST_IJLi23ELi24EEEENST_IJLi25EEEEEEENST_IJLi23ELi25ELi24EEEElEENSB_INS5_IJSR_SP_SP_SR_SG_EEENS5_IJSU_SV_SW_SY_SX_EEENS5_IJNST_IJLi1ELi2EEEESX_SY_NST_IJLi5ELi6EEEES11_EEENST_IJLi5ELi7ELi6EEEElEENSB_INS5_IJSK_SP_SP_EEENS5_IJSU_SV_SW_EEENS5_IJS1P_SX_SY_EEENST_IJLi3ELi4EEEElEELi128ELi128ELi16ELi2ELi4ELi4ELi1ENST_IJLi8ELi2EEEES1Z_NST_IJLi8ELi1ELi1ELi2EEEENST_IJLi2ELi1ELi128ELi1EEEENST_IJLi1ELi2ELi0ELi3EEEES22_NST_IJLi4ELi1ELi1ELi2EEEES22_NST_IJLi1ELi1ELi1ELi2EEEES20_S21_S22_S22_S23_S22_S24_NST_IJLi0ELi1ELi2ELi3ELi4ELi5EEEELi5ELi4EEEDF16_NS5_IJPKDF16_EEEDF16_S8_S8_S9_NSB_INS5_IJSE_SG_SI_SI_SI_SG_SG_SK_SK_SK_SG_SN_SN_SP_SP_SR_SG_SG_NSQ_INS5_IJiNS_17integral_constantIiLi128EEEEEELb0EEENSF_INS2A_IiLi2EEEEEEEENS5_IJSU_SV_SW_SX_SY_SZ_S10_S11_S12_S13_S14_S15_S16_S17_S18_S19_S1A_NST_IJLi23EEEES1J_NST_IJLi24EEEEEEENS5_IJS1C_S10_S11_S12_S13_S14_S1D_S1E_S1F_S1G_S1H_S17_S18_S1A_S19_S1I_S1J_NST_IJLi26EEEENST_IJLi27ELi28EEEENST_IJLi29EEEEEEENST_IJLi26ELi27ELi28ELi29EEEElEENSB_INS5_IJSR_SP_SP_SR_SG_SG_S2D_S2F_EEENS5_IJSU_SV_SW_SY_SX_SZ_S11_S10_EEENS5_IJS1P_SX_SY_S1Q_S11_S12_NST_IJLi9ELi10EEEES1D_EEENST_IJLi8ELi9ELi10ELi11EEEElEENS5_IJNSB_INS5_IJSK_SP_SP_NSQ_INS5_IJiS2E_NS2A_IiLi64EEEEEELb0EEES2Y_EEENS5_IJSU_SV_SW_SX_SY_EEENS5_IJS1P_SX_SY_NST_IJLi5ELi6ELi7EEEENST_IJLi8ELi9ELi10EEEEEEENST_IJLi5ELi6ELi7ELi8ELi9ELi10EEEElEEEEES35_NS_31BlockToCTileMap_M00_N00_M01_N01ILi128ELi128ES1Y_Lb0EEENS1_30ComputePtrOffsetOfStridedBatchILi1ELi1ELi1EvEELb0ELb0EEEvPKT0_S3D_T1_PT2_T3_T4_T5_iT6_T7_T8_T9_T10_T11_
		.amdhsa_group_segment_fixed_size 32768
		.amdhsa_private_segment_fixed_size 0
		.amdhsa_kernarg_size 1024
		.amdhsa_user_sgpr_count 15
		.amdhsa_user_sgpr_dispatch_ptr 0
		.amdhsa_user_sgpr_queue_ptr 0
		.amdhsa_user_sgpr_kernarg_segment_ptr 1
		.amdhsa_user_sgpr_dispatch_id 0
		.amdhsa_user_sgpr_private_segment_size 0
		.amdhsa_wavefront_size32 1
		.amdhsa_uses_dynamic_stack 0
		.amdhsa_enable_private_segment 0
		.amdhsa_system_sgpr_workgroup_id_x 1
		.amdhsa_system_sgpr_workgroup_id_y 0
		.amdhsa_system_sgpr_workgroup_id_z 0
		.amdhsa_system_sgpr_workgroup_info 0
		.amdhsa_system_vgpr_workitem_id 0
		.amdhsa_next_free_vgpr 136
		.amdhsa_next_free_sgpr 68
		.amdhsa_reserve_vcc 1
		.amdhsa_float_round_mode_32 0
		.amdhsa_float_round_mode_16_64 0
		.amdhsa_float_denorm_mode_32 3
		.amdhsa_float_denorm_mode_16_64 3
		.amdhsa_dx10_clamp 1
		.amdhsa_ieee_mode 1
		.amdhsa_fp16_overflow 0
		.amdhsa_workgroup_processor_mode 1
		.amdhsa_memory_ordered 1
		.amdhsa_forward_progress 0
		.amdhsa_shared_vgpr_count 0
		.amdhsa_exception_fp_ieee_invalid_op 0
		.amdhsa_exception_fp_denorm_src 0
		.amdhsa_exception_fp_ieee_div_zero 0
		.amdhsa_exception_fp_ieee_overflow 0
		.amdhsa_exception_fp_ieee_underflow 0
		.amdhsa_exception_fp_ieee_inexact 0
		.amdhsa_exception_int_div_zero 0
	.end_amdhsa_kernel
	.section	.text._ZN2ck16tensor_operation6device12_GLOBAL__N_137kernel_grouped_conv_fwd_dl_multiple_dINS_32GridwiseGemmDlMultipleD_km_kn_mnILi256EDF16_fNS_5TupleIJDF16_EEEDF16_NS0_12element_wise11PassThroughES8_NS7_7AddReluELNS_25InMemoryDataOperationEnumE0ENS_16TensorDescriptorINS5_IJNS_5EmbedINS5_IJiiiiiEEESD_Lb0EEENS_11PassThroughIiEENS_3PadIiiiLb0EEESI_SI_SG_SG_NSC_INS5_IJiiEEESJ_Lb0EEESK_SK_SG_NS_23Merge_v2_magic_divisionINS5_IJiiiiEEEEESN_NS_8RightPadIiiLb0EEESP_NS_7UnMergeISJ_Lb0EEESG_EEENS5_IJNS_8SequenceIJLi0EEEENST_IJLi1EEEENST_IJLi2EEEENST_IJLi3EEEENST_IJLi4EEEENST_IJLi5EEEENST_IJLi6EEEENST_IJLi7EEEENST_IJLi8EEEENST_IJLi9EEEENST_IJLi10EEEENST_IJLi11ELi13ELi15ELi17EEEENST_IJLi12ELi14ELi16ELi18EEEENST_IJLi19EEEENST_IJLi20EEEENST_IJLi22EEEENST_IJLi21EEEEEEENS5_IJNST_IJLi1ELi2ELi3ELi4ELi5EEEES10_S11_S12_S13_S14_NST_IJLi11EEEENST_IJLi12ELi13EEEENST_IJLi14ELi15EEEENST_IJLi16ELi17EEEENST_IJLi18EEEES17_S18_S1A_S19_NST_IJLi23ELi24EEEENST_IJLi25EEEEEEENST_IJLi23ELi25ELi24EEEElEENSB_INS5_IJSR_SP_SP_SR_SG_EEENS5_IJSU_SV_SW_SY_SX_EEENS5_IJNST_IJLi1ELi2EEEESX_SY_NST_IJLi5ELi6EEEES11_EEENST_IJLi5ELi7ELi6EEEElEENSB_INS5_IJSK_SP_SP_EEENS5_IJSU_SV_SW_EEENS5_IJS1P_SX_SY_EEENST_IJLi3ELi4EEEElEELi128ELi128ELi16ELi2ELi4ELi4ELi1ENST_IJLi8ELi2EEEES1Z_NST_IJLi8ELi1ELi1ELi2EEEENST_IJLi2ELi1ELi128ELi1EEEENST_IJLi1ELi2ELi0ELi3EEEES22_NST_IJLi4ELi1ELi1ELi2EEEES22_NST_IJLi1ELi1ELi1ELi2EEEES20_S21_S22_S22_S23_S22_S24_NST_IJLi0ELi1ELi2ELi3ELi4ELi5EEEELi5ELi4EEEDF16_NS5_IJPKDF16_EEEDF16_S8_S8_S9_NSB_INS5_IJSE_SG_SI_SI_SI_SG_SG_SK_SK_SK_SG_SN_SN_SP_SP_SR_SG_SG_NSQ_INS5_IJiNS_17integral_constantIiLi128EEEEEELb0EEENSF_INS2A_IiLi2EEEEEEEENS5_IJSU_SV_SW_SX_SY_SZ_S10_S11_S12_S13_S14_S15_S16_S17_S18_S19_S1A_NST_IJLi23EEEES1J_NST_IJLi24EEEEEEENS5_IJS1C_S10_S11_S12_S13_S14_S1D_S1E_S1F_S1G_S1H_S17_S18_S1A_S19_S1I_S1J_NST_IJLi26EEEENST_IJLi27ELi28EEEENST_IJLi29EEEEEEENST_IJLi26ELi27ELi28ELi29EEEElEENSB_INS5_IJSR_SP_SP_SR_SG_SG_S2D_S2F_EEENS5_IJSU_SV_SW_SY_SX_SZ_S11_S10_EEENS5_IJS1P_SX_SY_S1Q_S11_S12_NST_IJLi9ELi10EEEES1D_EEENST_IJLi8ELi9ELi10ELi11EEEElEENS5_IJNSB_INS5_IJSK_SP_SP_NSQ_INS5_IJiS2E_NS2A_IiLi64EEEEEELb0EEES2Y_EEENS5_IJSU_SV_SW_SX_SY_EEENS5_IJS1P_SX_SY_NST_IJLi5ELi6ELi7EEEENST_IJLi8ELi9ELi10EEEEEEENST_IJLi5ELi6ELi7ELi8ELi9ELi10EEEElEEEEES35_NS_31BlockToCTileMap_M00_N00_M01_N01ILi128ELi128ES1Y_Lb0EEENS1_30ComputePtrOffsetOfStridedBatchILi1ELi1ELi1EvEELb0ELb0EEEvPKT0_S3D_T1_PT2_T3_T4_T5_iT6_T7_T8_T9_T10_T11_,"axG",@progbits,_ZN2ck16tensor_operation6device12_GLOBAL__N_137kernel_grouped_conv_fwd_dl_multiple_dINS_32GridwiseGemmDlMultipleD_km_kn_mnILi256EDF16_fNS_5TupleIJDF16_EEEDF16_NS0_12element_wise11PassThroughES8_NS7_7AddReluELNS_25InMemoryDataOperationEnumE0ENS_16TensorDescriptorINS5_IJNS_5EmbedINS5_IJiiiiiEEESD_Lb0EEENS_11PassThroughIiEENS_3PadIiiiLb0EEESI_SI_SG_SG_NSC_INS5_IJiiEEESJ_Lb0EEESK_SK_SG_NS_23Merge_v2_magic_divisionINS5_IJiiiiEEEEESN_NS_8RightPadIiiLb0EEESP_NS_7UnMergeISJ_Lb0EEESG_EEENS5_IJNS_8SequenceIJLi0EEEENST_IJLi1EEEENST_IJLi2EEEENST_IJLi3EEEENST_IJLi4EEEENST_IJLi5EEEENST_IJLi6EEEENST_IJLi7EEEENST_IJLi8EEEENST_IJLi9EEEENST_IJLi10EEEENST_IJLi11ELi13ELi15ELi17EEEENST_IJLi12ELi14ELi16ELi18EEEENST_IJLi19EEEENST_IJLi20EEEENST_IJLi22EEEENST_IJLi21EEEEEEENS5_IJNST_IJLi1ELi2ELi3ELi4ELi5EEEES10_S11_S12_S13_S14_NST_IJLi11EEEENST_IJLi12ELi13EEEENST_IJLi14ELi15EEEENST_IJLi16ELi17EEEENST_IJLi18EEEES17_S18_S1A_S19_NST_IJLi23ELi24EEEENST_IJLi25EEEEEEENST_IJLi23ELi25ELi24EEEElEENSB_INS5_IJSR_SP_SP_SR_SG_EEENS5_IJSU_SV_SW_SY_SX_EEENS5_IJNST_IJLi1ELi2EEEESX_SY_NST_IJLi5ELi6EEEES11_EEENST_IJLi5ELi7ELi6EEEElEENSB_INS5_IJSK_SP_SP_EEENS5_IJSU_SV_SW_EEENS5_IJS1P_SX_SY_EEENST_IJLi3ELi4EEEElEELi128ELi128ELi16ELi2ELi4ELi4ELi1ENST_IJLi8ELi2EEEES1Z_NST_IJLi8ELi1ELi1ELi2EEEENST_IJLi2ELi1ELi128ELi1EEEENST_IJLi1ELi2ELi0ELi3EEEES22_NST_IJLi4ELi1ELi1ELi2EEEES22_NST_IJLi1ELi1ELi1ELi2EEEES20_S21_S22_S22_S23_S22_S24_NST_IJLi0ELi1ELi2ELi3ELi4ELi5EEEELi5ELi4EEEDF16_NS5_IJPKDF16_EEEDF16_S8_S8_S9_NSB_INS5_IJSE_SG_SI_SI_SI_SG_SG_SK_SK_SK_SG_SN_SN_SP_SP_SR_SG_SG_NSQ_INS5_IJiNS_17integral_constantIiLi128EEEEEELb0EEENSF_INS2A_IiLi2EEEEEEEENS5_IJSU_SV_SW_SX_SY_SZ_S10_S11_S12_S13_S14_S15_S16_S17_S18_S19_S1A_NST_IJLi23EEEES1J_NST_IJLi24EEEEEEENS5_IJS1C_S10_S11_S12_S13_S14_S1D_S1E_S1F_S1G_S1H_S17_S18_S1A_S19_S1I_S1J_NST_IJLi26EEEENST_IJLi27ELi28EEEENST_IJLi29EEEEEEENST_IJLi26ELi27ELi28ELi29EEEElEENSB_INS5_IJSR_SP_SP_SR_SG_SG_S2D_S2F_EEENS5_IJSU_SV_SW_SY_SX_SZ_S11_S10_EEENS5_IJS1P_SX_SY_S1Q_S11_S12_NST_IJLi9ELi10EEEES1D_EEENST_IJLi8ELi9ELi10ELi11EEEElEENS5_IJNSB_INS5_IJSK_SP_SP_NSQ_INS5_IJiS2E_NS2A_IiLi64EEEEEELb0EEES2Y_EEENS5_IJSU_SV_SW_SX_SY_EEENS5_IJS1P_SX_SY_NST_IJLi5ELi6ELi7EEEENST_IJLi8ELi9ELi10EEEEEEENST_IJLi5ELi6ELi7ELi8ELi9ELi10EEEElEEEEES35_NS_31BlockToCTileMap_M00_N00_M01_N01ILi128ELi128ES1Y_Lb0EEENS1_30ComputePtrOffsetOfStridedBatchILi1ELi1ELi1EvEELb0ELb0EEEvPKT0_S3D_T1_PT2_T3_T4_T5_iT6_T7_T8_T9_T10_T11_,comdat
.Lfunc_end12:
	.size	_ZN2ck16tensor_operation6device12_GLOBAL__N_137kernel_grouped_conv_fwd_dl_multiple_dINS_32GridwiseGemmDlMultipleD_km_kn_mnILi256EDF16_fNS_5TupleIJDF16_EEEDF16_NS0_12element_wise11PassThroughES8_NS7_7AddReluELNS_25InMemoryDataOperationEnumE0ENS_16TensorDescriptorINS5_IJNS_5EmbedINS5_IJiiiiiEEESD_Lb0EEENS_11PassThroughIiEENS_3PadIiiiLb0EEESI_SI_SG_SG_NSC_INS5_IJiiEEESJ_Lb0EEESK_SK_SG_NS_23Merge_v2_magic_divisionINS5_IJiiiiEEEEESN_NS_8RightPadIiiLb0EEESP_NS_7UnMergeISJ_Lb0EEESG_EEENS5_IJNS_8SequenceIJLi0EEEENST_IJLi1EEEENST_IJLi2EEEENST_IJLi3EEEENST_IJLi4EEEENST_IJLi5EEEENST_IJLi6EEEENST_IJLi7EEEENST_IJLi8EEEENST_IJLi9EEEENST_IJLi10EEEENST_IJLi11ELi13ELi15ELi17EEEENST_IJLi12ELi14ELi16ELi18EEEENST_IJLi19EEEENST_IJLi20EEEENST_IJLi22EEEENST_IJLi21EEEEEEENS5_IJNST_IJLi1ELi2ELi3ELi4ELi5EEEES10_S11_S12_S13_S14_NST_IJLi11EEEENST_IJLi12ELi13EEEENST_IJLi14ELi15EEEENST_IJLi16ELi17EEEENST_IJLi18EEEES17_S18_S1A_S19_NST_IJLi23ELi24EEEENST_IJLi25EEEEEEENST_IJLi23ELi25ELi24EEEElEENSB_INS5_IJSR_SP_SP_SR_SG_EEENS5_IJSU_SV_SW_SY_SX_EEENS5_IJNST_IJLi1ELi2EEEESX_SY_NST_IJLi5ELi6EEEES11_EEENST_IJLi5ELi7ELi6EEEElEENSB_INS5_IJSK_SP_SP_EEENS5_IJSU_SV_SW_EEENS5_IJS1P_SX_SY_EEENST_IJLi3ELi4EEEElEELi128ELi128ELi16ELi2ELi4ELi4ELi1ENST_IJLi8ELi2EEEES1Z_NST_IJLi8ELi1ELi1ELi2EEEENST_IJLi2ELi1ELi128ELi1EEEENST_IJLi1ELi2ELi0ELi3EEEES22_NST_IJLi4ELi1ELi1ELi2EEEES22_NST_IJLi1ELi1ELi1ELi2EEEES20_S21_S22_S22_S23_S22_S24_NST_IJLi0ELi1ELi2ELi3ELi4ELi5EEEELi5ELi4EEEDF16_NS5_IJPKDF16_EEEDF16_S8_S8_S9_NSB_INS5_IJSE_SG_SI_SI_SI_SG_SG_SK_SK_SK_SG_SN_SN_SP_SP_SR_SG_SG_NSQ_INS5_IJiNS_17integral_constantIiLi128EEEEEELb0EEENSF_INS2A_IiLi2EEEEEEEENS5_IJSU_SV_SW_SX_SY_SZ_S10_S11_S12_S13_S14_S15_S16_S17_S18_S19_S1A_NST_IJLi23EEEES1J_NST_IJLi24EEEEEEENS5_IJS1C_S10_S11_S12_S13_S14_S1D_S1E_S1F_S1G_S1H_S17_S18_S1A_S19_S1I_S1J_NST_IJLi26EEEENST_IJLi27ELi28EEEENST_IJLi29EEEEEEENST_IJLi26ELi27ELi28ELi29EEEElEENSB_INS5_IJSR_SP_SP_SR_SG_SG_S2D_S2F_EEENS5_IJSU_SV_SW_SY_SX_SZ_S11_S10_EEENS5_IJS1P_SX_SY_S1Q_S11_S12_NST_IJLi9ELi10EEEES1D_EEENST_IJLi8ELi9ELi10ELi11EEEElEENS5_IJNSB_INS5_IJSK_SP_SP_NSQ_INS5_IJiS2E_NS2A_IiLi64EEEEEELb0EEES2Y_EEENS5_IJSU_SV_SW_SX_SY_EEENS5_IJS1P_SX_SY_NST_IJLi5ELi6ELi7EEEENST_IJLi8ELi9ELi10EEEEEEENST_IJLi5ELi6ELi7ELi8ELi9ELi10EEEElEEEEES35_NS_31BlockToCTileMap_M00_N00_M01_N01ILi128ELi128ES1Y_Lb0EEENS1_30ComputePtrOffsetOfStridedBatchILi1ELi1ELi1EvEELb0ELb0EEEvPKT0_S3D_T1_PT2_T3_T4_T5_iT6_T7_T8_T9_T10_T11_, .Lfunc_end12-_ZN2ck16tensor_operation6device12_GLOBAL__N_137kernel_grouped_conv_fwd_dl_multiple_dINS_32GridwiseGemmDlMultipleD_km_kn_mnILi256EDF16_fNS_5TupleIJDF16_EEEDF16_NS0_12element_wise11PassThroughES8_NS7_7AddReluELNS_25InMemoryDataOperationEnumE0ENS_16TensorDescriptorINS5_IJNS_5EmbedINS5_IJiiiiiEEESD_Lb0EEENS_11PassThroughIiEENS_3PadIiiiLb0EEESI_SI_SG_SG_NSC_INS5_IJiiEEESJ_Lb0EEESK_SK_SG_NS_23Merge_v2_magic_divisionINS5_IJiiiiEEEEESN_NS_8RightPadIiiLb0EEESP_NS_7UnMergeISJ_Lb0EEESG_EEENS5_IJNS_8SequenceIJLi0EEEENST_IJLi1EEEENST_IJLi2EEEENST_IJLi3EEEENST_IJLi4EEEENST_IJLi5EEEENST_IJLi6EEEENST_IJLi7EEEENST_IJLi8EEEENST_IJLi9EEEENST_IJLi10EEEENST_IJLi11ELi13ELi15ELi17EEEENST_IJLi12ELi14ELi16ELi18EEEENST_IJLi19EEEENST_IJLi20EEEENST_IJLi22EEEENST_IJLi21EEEEEEENS5_IJNST_IJLi1ELi2ELi3ELi4ELi5EEEES10_S11_S12_S13_S14_NST_IJLi11EEEENST_IJLi12ELi13EEEENST_IJLi14ELi15EEEENST_IJLi16ELi17EEEENST_IJLi18EEEES17_S18_S1A_S19_NST_IJLi23ELi24EEEENST_IJLi25EEEEEEENST_IJLi23ELi25ELi24EEEElEENSB_INS5_IJSR_SP_SP_SR_SG_EEENS5_IJSU_SV_SW_SY_SX_EEENS5_IJNST_IJLi1ELi2EEEESX_SY_NST_IJLi5ELi6EEEES11_EEENST_IJLi5ELi7ELi6EEEElEENSB_INS5_IJSK_SP_SP_EEENS5_IJSU_SV_SW_EEENS5_IJS1P_SX_SY_EEENST_IJLi3ELi4EEEElEELi128ELi128ELi16ELi2ELi4ELi4ELi1ENST_IJLi8ELi2EEEES1Z_NST_IJLi8ELi1ELi1ELi2EEEENST_IJLi2ELi1ELi128ELi1EEEENST_IJLi1ELi2ELi0ELi3EEEES22_NST_IJLi4ELi1ELi1ELi2EEEES22_NST_IJLi1ELi1ELi1ELi2EEEES20_S21_S22_S22_S23_S22_S24_NST_IJLi0ELi1ELi2ELi3ELi4ELi5EEEELi5ELi4EEEDF16_NS5_IJPKDF16_EEEDF16_S8_S8_S9_NSB_INS5_IJSE_SG_SI_SI_SI_SG_SG_SK_SK_SK_SG_SN_SN_SP_SP_SR_SG_SG_NSQ_INS5_IJiNS_17integral_constantIiLi128EEEEEELb0EEENSF_INS2A_IiLi2EEEEEEEENS5_IJSU_SV_SW_SX_SY_SZ_S10_S11_S12_S13_S14_S15_S16_S17_S18_S19_S1A_NST_IJLi23EEEES1J_NST_IJLi24EEEEEEENS5_IJS1C_S10_S11_S12_S13_S14_S1D_S1E_S1F_S1G_S1H_S17_S18_S1A_S19_S1I_S1J_NST_IJLi26EEEENST_IJLi27ELi28EEEENST_IJLi29EEEEEEENST_IJLi26ELi27ELi28ELi29EEEElEENSB_INS5_IJSR_SP_SP_SR_SG_SG_S2D_S2F_EEENS5_IJSU_SV_SW_SY_SX_SZ_S11_S10_EEENS5_IJS1P_SX_SY_S1Q_S11_S12_NST_IJLi9ELi10EEEES1D_EEENST_IJLi8ELi9ELi10ELi11EEEElEENS5_IJNSB_INS5_IJSK_SP_SP_NSQ_INS5_IJiS2E_NS2A_IiLi64EEEEEELb0EEES2Y_EEENS5_IJSU_SV_SW_SX_SY_EEENS5_IJS1P_SX_SY_NST_IJLi5ELi6ELi7EEEENST_IJLi8ELi9ELi10EEEEEEENST_IJLi5ELi6ELi7ELi8ELi9ELi10EEEElEEEEES35_NS_31BlockToCTileMap_M00_N00_M01_N01ILi128ELi128ES1Y_Lb0EEENS1_30ComputePtrOffsetOfStridedBatchILi1ELi1ELi1EvEELb0ELb0EEEvPKT0_S3D_T1_PT2_T3_T4_T5_iT6_T7_T8_T9_T10_T11_
                                        ; -- End function
	.section	.AMDGPU.csdata,"",@progbits
; Kernel info:
; codeLenInByte = 9988
; NumSgprs: 70
; NumVgprs: 136
; ScratchSize: 0
; MemoryBound: 0
; FloatMode: 240
; IeeeMode: 1
; LDSByteSize: 32768 bytes/workgroup (compile time only)
; SGPRBlocks: 8
; VGPRBlocks: 16
; NumSGPRsForWavesPerEU: 70
; NumVGPRsForWavesPerEU: 136
; Occupancy: 8
; WaveLimiterHint : 0
; COMPUTE_PGM_RSRC2:SCRATCH_EN: 0
; COMPUTE_PGM_RSRC2:USER_SGPR: 15
; COMPUTE_PGM_RSRC2:TRAP_HANDLER: 0
; COMPUTE_PGM_RSRC2:TGID_X_EN: 1
; COMPUTE_PGM_RSRC2:TGID_Y_EN: 0
; COMPUTE_PGM_RSRC2:TGID_Z_EN: 0
; COMPUTE_PGM_RSRC2:TIDIG_COMP_CNT: 0
	.text
	.p2alignl 7, 3214868480
	.fill 96, 4, 3214868480
	.type	__hip_cuid_780f43edcc9c3809,@object ; @__hip_cuid_780f43edcc9c3809
	.section	.bss,"aw",@nobits
	.globl	__hip_cuid_780f43edcc9c3809
__hip_cuid_780f43edcc9c3809:
	.byte	0                               ; 0x0
	.size	__hip_cuid_780f43edcc9c3809, 1

	.ident	"AMD clang version 19.0.0git (https://github.com/RadeonOpenCompute/llvm-project roc-6.4.0 25133 c7fe45cf4b819c5991fe208aaa96edf142730f1d)"
	.section	".note.GNU-stack","",@progbits
	.addrsig
	.addrsig_sym __hip_cuid_780f43edcc9c3809
	.amdgpu_metadata
---
amdhsa.kernels:
  - .args:           []
    .group_segment_fixed_size: 0
    .kernarg_segment_align: 4
    .kernarg_segment_size: 0
    .language:       OpenCL C
    .language_version:
      - 2
      - 0
    .max_flat_workgroup_size: 1024
    .name:           _ZN2ckL12flush_icacheEv
    .private_segment_fixed_size: 0
    .sgpr_count:     0
    .sgpr_spill_count: 0
    .symbol:         _ZN2ckL12flush_icacheEv.kd
    .uniform_work_group_size: 1
    .uses_dynamic_stack: false
    .vgpr_count:     0
    .vgpr_spill_count: 0
    .wavefront_size: 32
    .workgroup_processor_mode: 1
  - .args:
      - .address_space:  global
        .offset:         0
        .size:           8
        .value_kind:     global_buffer
      - .address_space:  global
        .offset:         8
        .size:           8
        .value_kind:     global_buffer
      - .address_space:  global
        .offset:         16
        .size:           8
        .value_kind:     global_buffer
      - .address_space:  global
        .offset:         24
        .size:           8
        .value_kind:     global_buffer
      - .offset:         32
        .size:           1
        .value_kind:     by_value
      - .offset:         33
        .size:           1
        .value_kind:     by_value
      - .offset:         34
        .size:           1
        .value_kind:     by_value
      - .offset:         36
        .size:           4
        .value_kind:     by_value
      - .offset:         40
        .size:           200
        .value_kind:     by_value
      - .offset:         240
        .size:           96
        .value_kind:     by_value
      - .offset:         336
        .size:           80
        .value_kind:     by_value
      - .offset:         416
        .size:           80
        .value_kind:     by_value
      - .offset:         496
        .size:           112
        .value_kind:     by_value
      - .offset:         608
        .size:           40
        .value_kind:     by_value
      - .offset:         648
        .size:           4
        .value_kind:     hidden_block_count_x
      - .offset:         652
        .size:           4
        .value_kind:     hidden_block_count_y
      - .offset:         656
        .size:           4
        .value_kind:     hidden_block_count_z
      - .offset:         660
        .size:           2
        .value_kind:     hidden_group_size_x
      - .offset:         662
        .size:           2
        .value_kind:     hidden_group_size_y
      - .offset:         664
        .size:           2
        .value_kind:     hidden_group_size_z
      - .offset:         666
        .size:           2
        .value_kind:     hidden_remainder_x
      - .offset:         668
        .size:           2
        .value_kind:     hidden_remainder_y
      - .offset:         670
        .size:           2
        .value_kind:     hidden_remainder_z
      - .offset:         688
        .size:           8
        .value_kind:     hidden_global_offset_x
      - .offset:         696
        .size:           8
        .value_kind:     hidden_global_offset_y
      - .offset:         704
        .size:           8
        .value_kind:     hidden_global_offset_z
      - .offset:         712
        .size:           2
        .value_kind:     hidden_grid_dims
    .group_segment_fixed_size: 32768
    .kernarg_segment_align: 8
    .kernarg_segment_size: 904
    .language:       OpenCL C
    .language_version:
      - 2
      - 0
    .max_flat_workgroup_size: 256
    .name:           _ZN2ck16tensor_operation6device12_GLOBAL__N_137kernel_grouped_conv_fwd_dl_multiple_dINS_32GridwiseGemmDlMultipleD_km_kn_mnILi256EDF16_fNS_5TupleIJDF16_EEEDF16_NS0_12element_wise11PassThroughES8_NS7_7AddReluELNS_25InMemoryDataOperationEnumE0ENS_16TensorDescriptorINS5_IJNS_5EmbedINS5_IJiiiEEESD_Lb0EEENS_11PassThroughIiEENS_3PadIiiiLb0EEESG_SG_NSC_INS5_IJiiEEESJ_Lb0EEESG_NS_23Merge_v2_magic_divisionISJ_EESM_NS_8RightPadIiiLb0EEESO_NS_7UnMergeISJ_Lb0EEESG_EEENS5_IJNS_8SequenceIJLi0EEEENSS_IJLi1EEEENSS_IJLi2EEEENSS_IJLi3EEEENSS_IJLi4EEEENSS_IJLi5EEEENSS_IJLi6EEEENSS_IJLi7ELi9EEEENSS_IJLi8ELi10EEEENSS_IJLi11EEEENSS_IJLi12EEEENSS_IJLi14EEEENSS_IJLi13EEEEEEENS5_IJNSS_IJLi1ELi2ELi3EEEESX_SY_SZ_NSS_IJLi7EEEENSS_IJLi8ELi9EEEENSS_IJLi10EEEES12_S13_S15_S14_NSS_IJLi15ELi16EEEENSS_IJLi17EEEEEEENSS_IJLi15ELi17ELi16EEEElEENSB_INS5_IJSQ_SO_SO_SQ_SG_EEENS5_IJST_SU_SV_SX_SW_EEENS5_IJNSS_IJLi1ELi2EEEESW_SX_NSS_IJLi5ELi6EEEES18_EEENSS_IJLi5ELi7ELi6EEEElEENSB_INS5_IJSK_SO_SO_EEENS5_IJST_SU_SV_EEENS5_IJS1I_SW_SX_EEENSS_IJLi3ELi4EEEElEELi128ELi128ELi16ELi2ELi4ELi4ELi1ENSS_IJLi8ELi2EEEES1S_NSS_IJLi8ELi1ELi1ELi2EEEENSS_IJLi2ELi1ELi128ELi1EEEENSS_IJLi1ELi2ELi0ELi3EEEES1V_NSS_IJLi4ELi1ELi1ELi2EEEES1V_NSS_IJLi1ELi1ELi1ELi2EEEES1T_S1U_S1V_S1V_S1W_S1V_S1X_NSS_IJLi0ELi1ELi2ELi3ELi4ELi5EEEELi5ELi4EEEDF16_NS5_IJPKDF16_EEEDF16_S8_S8_S9_NSB_INS5_IJSE_SG_SI_SG_SG_SK_SG_SM_SM_SO_SO_SQ_SG_SG_NSP_INS5_IJiNS_17integral_constantIiLi128EEEEEELb0EEENSF_INS23_IiLi2EEEEEEEENS5_IJST_SU_SV_SW_SX_SY_SZ_S10_S11_S12_S13_S14_S15_NSS_IJLi15EEEES1C_NSS_IJLi16EEEEEEENS5_IJS17_SX_SY_SZ_S18_S19_S1A_S12_S13_S15_S14_S1B_S1C_NSS_IJLi18EEEENSS_IJLi19ELi20EEEENSS_IJLi21EEEEEEENSS_IJLi18ELi19ELi20ELi21EEEElEENSB_INS5_IJSQ_SO_SO_SQ_SG_SG_S26_S28_EEENS5_IJST_SU_SV_SX_SW_SY_S18_SZ_EEENS5_IJS1I_SW_SX_S1J_S18_NSS_IJLi8EEEENSS_IJLi9ELi10EEEES12_EEENSS_IJLi8ELi9ELi10ELi11EEEElEENS5_IJNSB_INS5_IJSK_SO_SO_NSP_INS5_IJiS27_NS23_IiLi64EEEEEELb0EEES2S_EEENS5_IJST_SU_SV_SW_SX_EEENS5_IJS1I_SW_SX_NSS_IJLi5ELi6ELi7EEEENSS_IJLi8ELi9ELi10EEEEEEENSS_IJLi5ELi6ELi7ELi8ELi9ELi10EEEElEEEEES2Z_NS_31BlockToCTileMap_M00_N00_M01_N01ILi128ELi128ES1R_Lb0EEENS1_30ComputePtrOffsetOfStridedBatchILi1ELi1ELi1EvEELb1ELb1EEEvPKT0_S37_T1_PT2_T3_T4_T5_iT6_T7_T8_T9_T10_T11_
    .private_segment_fixed_size: 0
    .sgpr_count:     65
    .sgpr_spill_count: 0
    .symbol:         _ZN2ck16tensor_operation6device12_GLOBAL__N_137kernel_grouped_conv_fwd_dl_multiple_dINS_32GridwiseGemmDlMultipleD_km_kn_mnILi256EDF16_fNS_5TupleIJDF16_EEEDF16_NS0_12element_wise11PassThroughES8_NS7_7AddReluELNS_25InMemoryDataOperationEnumE0ENS_16TensorDescriptorINS5_IJNS_5EmbedINS5_IJiiiEEESD_Lb0EEENS_11PassThroughIiEENS_3PadIiiiLb0EEESG_SG_NSC_INS5_IJiiEEESJ_Lb0EEESG_NS_23Merge_v2_magic_divisionISJ_EESM_NS_8RightPadIiiLb0EEESO_NS_7UnMergeISJ_Lb0EEESG_EEENS5_IJNS_8SequenceIJLi0EEEENSS_IJLi1EEEENSS_IJLi2EEEENSS_IJLi3EEEENSS_IJLi4EEEENSS_IJLi5EEEENSS_IJLi6EEEENSS_IJLi7ELi9EEEENSS_IJLi8ELi10EEEENSS_IJLi11EEEENSS_IJLi12EEEENSS_IJLi14EEEENSS_IJLi13EEEEEEENS5_IJNSS_IJLi1ELi2ELi3EEEESX_SY_SZ_NSS_IJLi7EEEENSS_IJLi8ELi9EEEENSS_IJLi10EEEES12_S13_S15_S14_NSS_IJLi15ELi16EEEENSS_IJLi17EEEEEEENSS_IJLi15ELi17ELi16EEEElEENSB_INS5_IJSQ_SO_SO_SQ_SG_EEENS5_IJST_SU_SV_SX_SW_EEENS5_IJNSS_IJLi1ELi2EEEESW_SX_NSS_IJLi5ELi6EEEES18_EEENSS_IJLi5ELi7ELi6EEEElEENSB_INS5_IJSK_SO_SO_EEENS5_IJST_SU_SV_EEENS5_IJS1I_SW_SX_EEENSS_IJLi3ELi4EEEElEELi128ELi128ELi16ELi2ELi4ELi4ELi1ENSS_IJLi8ELi2EEEES1S_NSS_IJLi8ELi1ELi1ELi2EEEENSS_IJLi2ELi1ELi128ELi1EEEENSS_IJLi1ELi2ELi0ELi3EEEES1V_NSS_IJLi4ELi1ELi1ELi2EEEES1V_NSS_IJLi1ELi1ELi1ELi2EEEES1T_S1U_S1V_S1V_S1W_S1V_S1X_NSS_IJLi0ELi1ELi2ELi3ELi4ELi5EEEELi5ELi4EEEDF16_NS5_IJPKDF16_EEEDF16_S8_S8_S9_NSB_INS5_IJSE_SG_SI_SG_SG_SK_SG_SM_SM_SO_SO_SQ_SG_SG_NSP_INS5_IJiNS_17integral_constantIiLi128EEEEEELb0EEENSF_INS23_IiLi2EEEEEEEENS5_IJST_SU_SV_SW_SX_SY_SZ_S10_S11_S12_S13_S14_S15_NSS_IJLi15EEEES1C_NSS_IJLi16EEEEEEENS5_IJS17_SX_SY_SZ_S18_S19_S1A_S12_S13_S15_S14_S1B_S1C_NSS_IJLi18EEEENSS_IJLi19ELi20EEEENSS_IJLi21EEEEEEENSS_IJLi18ELi19ELi20ELi21EEEElEENSB_INS5_IJSQ_SO_SO_SQ_SG_SG_S26_S28_EEENS5_IJST_SU_SV_SX_SW_SY_S18_SZ_EEENS5_IJS1I_SW_SX_S1J_S18_NSS_IJLi8EEEENSS_IJLi9ELi10EEEES12_EEENSS_IJLi8ELi9ELi10ELi11EEEElEENS5_IJNSB_INS5_IJSK_SO_SO_NSP_INS5_IJiS27_NS23_IiLi64EEEEEELb0EEES2S_EEENS5_IJST_SU_SV_SW_SX_EEENS5_IJS1I_SW_SX_NSS_IJLi5ELi6ELi7EEEENSS_IJLi8ELi9ELi10EEEEEEENSS_IJLi5ELi6ELi7ELi8ELi9ELi10EEEElEEEEES2Z_NS_31BlockToCTileMap_M00_N00_M01_N01ILi128ELi128ES1R_Lb0EEENS1_30ComputePtrOffsetOfStridedBatchILi1ELi1ELi1EvEELb1ELb1EEEvPKT0_S37_T1_PT2_T3_T4_T5_iT6_T7_T8_T9_T10_T11_.kd
    .uniform_work_group_size: 1
    .uses_dynamic_stack: false
    .vgpr_count:     174
    .vgpr_spill_count: 0
    .wavefront_size: 32
    .workgroup_processor_mode: 1
  - .args:
      - .address_space:  global
        .offset:         0
        .size:           8
        .value_kind:     global_buffer
      - .address_space:  global
        .offset:         8
        .size:           8
        .value_kind:     global_buffer
      - .address_space:  global
        .offset:         16
        .size:           8
        .value_kind:     global_buffer
      - .address_space:  global
        .offset:         24
        .size:           8
        .value_kind:     global_buffer
      - .offset:         32
        .size:           1
        .value_kind:     by_value
      - .offset:         33
        .size:           1
        .value_kind:     by_value
      - .offset:         34
        .size:           1
        .value_kind:     by_value
      - .offset:         36
        .size:           4
        .value_kind:     by_value
      - .offset:         40
        .size:           200
        .value_kind:     by_value
      - .offset:         240
        .size:           96
        .value_kind:     by_value
      - .offset:         336
        .size:           80
        .value_kind:     by_value
      - .offset:         416
        .size:           80
        .value_kind:     by_value
      - .offset:         496
        .size:           112
        .value_kind:     by_value
      - .offset:         608
        .size:           40
        .value_kind:     by_value
      - .offset:         648
        .size:           4
        .value_kind:     hidden_block_count_x
      - .offset:         652
        .size:           4
        .value_kind:     hidden_block_count_y
      - .offset:         656
        .size:           4
        .value_kind:     hidden_block_count_z
      - .offset:         660
        .size:           2
        .value_kind:     hidden_group_size_x
      - .offset:         662
        .size:           2
        .value_kind:     hidden_group_size_y
      - .offset:         664
        .size:           2
        .value_kind:     hidden_group_size_z
      - .offset:         666
        .size:           2
        .value_kind:     hidden_remainder_x
      - .offset:         668
        .size:           2
        .value_kind:     hidden_remainder_y
      - .offset:         670
        .size:           2
        .value_kind:     hidden_remainder_z
      - .offset:         688
        .size:           8
        .value_kind:     hidden_global_offset_x
      - .offset:         696
        .size:           8
        .value_kind:     hidden_global_offset_y
      - .offset:         704
        .size:           8
        .value_kind:     hidden_global_offset_z
      - .offset:         712
        .size:           2
        .value_kind:     hidden_grid_dims
    .group_segment_fixed_size: 32768
    .kernarg_segment_align: 8
    .kernarg_segment_size: 904
    .language:       OpenCL C
    .language_version:
      - 2
      - 0
    .max_flat_workgroup_size: 256
    .name:           _ZN2ck16tensor_operation6device12_GLOBAL__N_137kernel_grouped_conv_fwd_dl_multiple_dINS_32GridwiseGemmDlMultipleD_km_kn_mnILi256EDF16_fNS_5TupleIJDF16_EEEDF16_NS0_12element_wise11PassThroughES8_NS7_7AddReluELNS_25InMemoryDataOperationEnumE0ENS_16TensorDescriptorINS5_IJNS_5EmbedINS5_IJiiiEEESD_Lb0EEENS_11PassThroughIiEENS_3PadIiiiLb0EEESG_SG_NSC_INS5_IJiiEEESJ_Lb0EEESG_NS_23Merge_v2_magic_divisionISJ_EESM_NS_8RightPadIiiLb0EEESO_NS_7UnMergeISJ_Lb0EEESG_EEENS5_IJNS_8SequenceIJLi0EEEENSS_IJLi1EEEENSS_IJLi2EEEENSS_IJLi3EEEENSS_IJLi4EEEENSS_IJLi5EEEENSS_IJLi6EEEENSS_IJLi7ELi9EEEENSS_IJLi8ELi10EEEENSS_IJLi11EEEENSS_IJLi12EEEENSS_IJLi14EEEENSS_IJLi13EEEEEEENS5_IJNSS_IJLi1ELi2ELi3EEEESX_SY_SZ_NSS_IJLi7EEEENSS_IJLi8ELi9EEEENSS_IJLi10EEEES12_S13_S15_S14_NSS_IJLi15ELi16EEEENSS_IJLi17EEEEEEENSS_IJLi15ELi17ELi16EEEElEENSB_INS5_IJSQ_SO_SO_SQ_SG_EEENS5_IJST_SU_SV_SX_SW_EEENS5_IJNSS_IJLi1ELi2EEEESW_SX_NSS_IJLi5ELi6EEEES18_EEENSS_IJLi5ELi7ELi6EEEElEENSB_INS5_IJSK_SO_SO_EEENS5_IJST_SU_SV_EEENS5_IJS1I_SW_SX_EEENSS_IJLi3ELi4EEEElEELi128ELi128ELi16ELi2ELi4ELi4ELi1ENSS_IJLi8ELi2EEEES1S_NSS_IJLi8ELi1ELi1ELi2EEEENSS_IJLi2ELi1ELi128ELi1EEEENSS_IJLi1ELi2ELi0ELi3EEEES1V_NSS_IJLi4ELi1ELi1ELi2EEEES1V_NSS_IJLi1ELi1ELi1ELi2EEEES1T_S1U_S1V_S1V_S1W_S1V_S1X_NSS_IJLi0ELi1ELi2ELi3ELi4ELi5EEEELi5ELi4EEEDF16_NS5_IJPKDF16_EEEDF16_S8_S8_S9_NSB_INS5_IJSE_SG_SI_SG_SG_SK_SG_SM_SM_SO_SO_SQ_SG_SG_NSP_INS5_IJiNS_17integral_constantIiLi128EEEEEELb0EEENSF_INS23_IiLi2EEEEEEEENS5_IJST_SU_SV_SW_SX_SY_SZ_S10_S11_S12_S13_S14_S15_NSS_IJLi15EEEES1C_NSS_IJLi16EEEEEEENS5_IJS17_SX_SY_SZ_S18_S19_S1A_S12_S13_S15_S14_S1B_S1C_NSS_IJLi18EEEENSS_IJLi19ELi20EEEENSS_IJLi21EEEEEEENSS_IJLi18ELi19ELi20ELi21EEEElEENSB_INS5_IJSQ_SO_SO_SQ_SG_SG_S26_S28_EEENS5_IJST_SU_SV_SX_SW_SY_S18_SZ_EEENS5_IJS1I_SW_SX_S1J_S18_NSS_IJLi8EEEENSS_IJLi9ELi10EEEES12_EEENSS_IJLi8ELi9ELi10ELi11EEEElEENS5_IJNSB_INS5_IJSK_SO_SO_NSP_INS5_IJiS27_NS23_IiLi64EEEEEELb0EEES2S_EEENS5_IJST_SU_SV_SW_SX_EEENS5_IJS1I_SW_SX_NSS_IJLi5ELi6ELi7EEEENSS_IJLi8ELi9ELi10EEEEEEENSS_IJLi5ELi6ELi7ELi8ELi9ELi10EEEElEEEEES2Z_NS_31BlockToCTileMap_M00_N00_M01_N01ILi128ELi128ES1R_Lb0EEENS1_30ComputePtrOffsetOfStridedBatchILi1ELi1ELi1EvEELb1ELb0EEEvPKT0_S37_T1_PT2_T3_T4_T5_iT6_T7_T8_T9_T10_T11_
    .private_segment_fixed_size: 0
    .sgpr_count:     63
    .sgpr_spill_count: 0
    .symbol:         _ZN2ck16tensor_operation6device12_GLOBAL__N_137kernel_grouped_conv_fwd_dl_multiple_dINS_32GridwiseGemmDlMultipleD_km_kn_mnILi256EDF16_fNS_5TupleIJDF16_EEEDF16_NS0_12element_wise11PassThroughES8_NS7_7AddReluELNS_25InMemoryDataOperationEnumE0ENS_16TensorDescriptorINS5_IJNS_5EmbedINS5_IJiiiEEESD_Lb0EEENS_11PassThroughIiEENS_3PadIiiiLb0EEESG_SG_NSC_INS5_IJiiEEESJ_Lb0EEESG_NS_23Merge_v2_magic_divisionISJ_EESM_NS_8RightPadIiiLb0EEESO_NS_7UnMergeISJ_Lb0EEESG_EEENS5_IJNS_8SequenceIJLi0EEEENSS_IJLi1EEEENSS_IJLi2EEEENSS_IJLi3EEEENSS_IJLi4EEEENSS_IJLi5EEEENSS_IJLi6EEEENSS_IJLi7ELi9EEEENSS_IJLi8ELi10EEEENSS_IJLi11EEEENSS_IJLi12EEEENSS_IJLi14EEEENSS_IJLi13EEEEEEENS5_IJNSS_IJLi1ELi2ELi3EEEESX_SY_SZ_NSS_IJLi7EEEENSS_IJLi8ELi9EEEENSS_IJLi10EEEES12_S13_S15_S14_NSS_IJLi15ELi16EEEENSS_IJLi17EEEEEEENSS_IJLi15ELi17ELi16EEEElEENSB_INS5_IJSQ_SO_SO_SQ_SG_EEENS5_IJST_SU_SV_SX_SW_EEENS5_IJNSS_IJLi1ELi2EEEESW_SX_NSS_IJLi5ELi6EEEES18_EEENSS_IJLi5ELi7ELi6EEEElEENSB_INS5_IJSK_SO_SO_EEENS5_IJST_SU_SV_EEENS5_IJS1I_SW_SX_EEENSS_IJLi3ELi4EEEElEELi128ELi128ELi16ELi2ELi4ELi4ELi1ENSS_IJLi8ELi2EEEES1S_NSS_IJLi8ELi1ELi1ELi2EEEENSS_IJLi2ELi1ELi128ELi1EEEENSS_IJLi1ELi2ELi0ELi3EEEES1V_NSS_IJLi4ELi1ELi1ELi2EEEES1V_NSS_IJLi1ELi1ELi1ELi2EEEES1T_S1U_S1V_S1V_S1W_S1V_S1X_NSS_IJLi0ELi1ELi2ELi3ELi4ELi5EEEELi5ELi4EEEDF16_NS5_IJPKDF16_EEEDF16_S8_S8_S9_NSB_INS5_IJSE_SG_SI_SG_SG_SK_SG_SM_SM_SO_SO_SQ_SG_SG_NSP_INS5_IJiNS_17integral_constantIiLi128EEEEEELb0EEENSF_INS23_IiLi2EEEEEEEENS5_IJST_SU_SV_SW_SX_SY_SZ_S10_S11_S12_S13_S14_S15_NSS_IJLi15EEEES1C_NSS_IJLi16EEEEEEENS5_IJS17_SX_SY_SZ_S18_S19_S1A_S12_S13_S15_S14_S1B_S1C_NSS_IJLi18EEEENSS_IJLi19ELi20EEEENSS_IJLi21EEEEEEENSS_IJLi18ELi19ELi20ELi21EEEElEENSB_INS5_IJSQ_SO_SO_SQ_SG_SG_S26_S28_EEENS5_IJST_SU_SV_SX_SW_SY_S18_SZ_EEENS5_IJS1I_SW_SX_S1J_S18_NSS_IJLi8EEEENSS_IJLi9ELi10EEEES12_EEENSS_IJLi8ELi9ELi10ELi11EEEElEENS5_IJNSB_INS5_IJSK_SO_SO_NSP_INS5_IJiS27_NS23_IiLi64EEEEEELb0EEES2S_EEENS5_IJST_SU_SV_SW_SX_EEENS5_IJS1I_SW_SX_NSS_IJLi5ELi6ELi7EEEENSS_IJLi8ELi9ELi10EEEEEEENSS_IJLi5ELi6ELi7ELi8ELi9ELi10EEEElEEEEES2Z_NS_31BlockToCTileMap_M00_N00_M01_N01ILi128ELi128ES1R_Lb0EEENS1_30ComputePtrOffsetOfStridedBatchILi1ELi1ELi1EvEELb1ELb0EEEvPKT0_S37_T1_PT2_T3_T4_T5_iT6_T7_T8_T9_T10_T11_.kd
    .uniform_work_group_size: 1
    .uses_dynamic_stack: false
    .vgpr_count:     128
    .vgpr_spill_count: 0
    .wavefront_size: 32
    .workgroup_processor_mode: 1
  - .args:
      - .address_space:  global
        .offset:         0
        .size:           8
        .value_kind:     global_buffer
      - .address_space:  global
        .offset:         8
        .size:           8
        .value_kind:     global_buffer
      - .address_space:  global
        .offset:         16
        .size:           8
        .value_kind:     global_buffer
      - .address_space:  global
        .offset:         24
        .size:           8
        .value_kind:     global_buffer
      - .offset:         32
        .size:           1
        .value_kind:     by_value
      - .offset:         33
        .size:           1
        .value_kind:     by_value
      - .offset:         34
        .size:           1
        .value_kind:     by_value
      - .offset:         36
        .size:           4
        .value_kind:     by_value
      - .offset:         40
        .size:           200
        .value_kind:     by_value
      - .offset:         240
        .size:           96
        .value_kind:     by_value
      - .offset:         336
        .size:           80
        .value_kind:     by_value
      - .offset:         416
        .size:           80
        .value_kind:     by_value
      - .offset:         496
        .size:           112
        .value_kind:     by_value
      - .offset:         608
        .size:           40
        .value_kind:     by_value
      - .offset:         648
        .size:           4
        .value_kind:     hidden_block_count_x
      - .offset:         652
        .size:           4
        .value_kind:     hidden_block_count_y
      - .offset:         656
        .size:           4
        .value_kind:     hidden_block_count_z
      - .offset:         660
        .size:           2
        .value_kind:     hidden_group_size_x
      - .offset:         662
        .size:           2
        .value_kind:     hidden_group_size_y
      - .offset:         664
        .size:           2
        .value_kind:     hidden_group_size_z
      - .offset:         666
        .size:           2
        .value_kind:     hidden_remainder_x
      - .offset:         668
        .size:           2
        .value_kind:     hidden_remainder_y
      - .offset:         670
        .size:           2
        .value_kind:     hidden_remainder_z
      - .offset:         688
        .size:           8
        .value_kind:     hidden_global_offset_x
      - .offset:         696
        .size:           8
        .value_kind:     hidden_global_offset_y
      - .offset:         704
        .size:           8
        .value_kind:     hidden_global_offset_z
      - .offset:         712
        .size:           2
        .value_kind:     hidden_grid_dims
    .group_segment_fixed_size: 32768
    .kernarg_segment_align: 8
    .kernarg_segment_size: 904
    .language:       OpenCL C
    .language_version:
      - 2
      - 0
    .max_flat_workgroup_size: 256
    .name:           _ZN2ck16tensor_operation6device12_GLOBAL__N_137kernel_grouped_conv_fwd_dl_multiple_dINS_32GridwiseGemmDlMultipleD_km_kn_mnILi256EDF16_fNS_5TupleIJDF16_EEEDF16_NS0_12element_wise11PassThroughES8_NS7_7AddReluELNS_25InMemoryDataOperationEnumE0ENS_16TensorDescriptorINS5_IJNS_5EmbedINS5_IJiiiEEESD_Lb0EEENS_11PassThroughIiEENS_3PadIiiiLb0EEESG_SG_NSC_INS5_IJiiEEESJ_Lb0EEESG_NS_23Merge_v2_magic_divisionISJ_EESM_NS_8RightPadIiiLb0EEESO_NS_7UnMergeISJ_Lb0EEESG_EEENS5_IJNS_8SequenceIJLi0EEEENSS_IJLi1EEEENSS_IJLi2EEEENSS_IJLi3EEEENSS_IJLi4EEEENSS_IJLi5EEEENSS_IJLi6EEEENSS_IJLi7ELi9EEEENSS_IJLi8ELi10EEEENSS_IJLi11EEEENSS_IJLi12EEEENSS_IJLi14EEEENSS_IJLi13EEEEEEENS5_IJNSS_IJLi1ELi2ELi3EEEESX_SY_SZ_NSS_IJLi7EEEENSS_IJLi8ELi9EEEENSS_IJLi10EEEES12_S13_S15_S14_NSS_IJLi15ELi16EEEENSS_IJLi17EEEEEEENSS_IJLi15ELi17ELi16EEEElEENSB_INS5_IJSQ_SO_SO_SQ_SG_EEENS5_IJST_SU_SV_SX_SW_EEENS5_IJNSS_IJLi1ELi2EEEESW_SX_NSS_IJLi5ELi6EEEES18_EEENSS_IJLi5ELi7ELi6EEEElEENSB_INS5_IJSK_SO_SO_EEENS5_IJST_SU_SV_EEENS5_IJS1I_SW_SX_EEENSS_IJLi3ELi4EEEElEELi128ELi128ELi16ELi2ELi4ELi4ELi1ENSS_IJLi8ELi2EEEES1S_NSS_IJLi8ELi1ELi1ELi2EEEENSS_IJLi2ELi1ELi128ELi1EEEENSS_IJLi1ELi2ELi0ELi3EEEES1V_NSS_IJLi4ELi1ELi1ELi2EEEES1V_NSS_IJLi1ELi1ELi1ELi2EEEES1T_S1U_S1V_S1V_S1W_S1V_S1X_NSS_IJLi0ELi1ELi2ELi3ELi4ELi5EEEELi5ELi4EEEDF16_NS5_IJPKDF16_EEEDF16_S8_S8_S9_NSB_INS5_IJSE_SG_SI_SG_SG_SK_SG_SM_SM_SO_SO_SQ_SG_SG_NSP_INS5_IJiNS_17integral_constantIiLi128EEEEEELb0EEENSF_INS23_IiLi2EEEEEEEENS5_IJST_SU_SV_SW_SX_SY_SZ_S10_S11_S12_S13_S14_S15_NSS_IJLi15EEEES1C_NSS_IJLi16EEEEEEENS5_IJS17_SX_SY_SZ_S18_S19_S1A_S12_S13_S15_S14_S1B_S1C_NSS_IJLi18EEEENSS_IJLi19ELi20EEEENSS_IJLi21EEEEEEENSS_IJLi18ELi19ELi20ELi21EEEElEENSB_INS5_IJSQ_SO_SO_SQ_SG_SG_S26_S28_EEENS5_IJST_SU_SV_SX_SW_SY_S18_SZ_EEENS5_IJS1I_SW_SX_S1J_S18_NSS_IJLi8EEEENSS_IJLi9ELi10EEEES12_EEENSS_IJLi8ELi9ELi10ELi11EEEElEENS5_IJNSB_INS5_IJSK_SO_SO_NSP_INS5_IJiS27_NS23_IiLi64EEEEEELb0EEES2S_EEENS5_IJST_SU_SV_SW_SX_EEENS5_IJS1I_SW_SX_NSS_IJLi5ELi6ELi7EEEENSS_IJLi8ELi9ELi10EEEEEEENSS_IJLi5ELi6ELi7ELi8ELi9ELi10EEEElEEEEES2Z_NS_31BlockToCTileMap_M00_N00_M01_N01ILi128ELi128ES1R_Lb0EEENS1_30ComputePtrOffsetOfStridedBatchILi1ELi1ELi1EvEELb0ELb1EEEvPKT0_S37_T1_PT2_T3_T4_T5_iT6_T7_T8_T9_T10_T11_
    .private_segment_fixed_size: 0
    .sgpr_count:     54
    .sgpr_spill_count: 0
    .symbol:         _ZN2ck16tensor_operation6device12_GLOBAL__N_137kernel_grouped_conv_fwd_dl_multiple_dINS_32GridwiseGemmDlMultipleD_km_kn_mnILi256EDF16_fNS_5TupleIJDF16_EEEDF16_NS0_12element_wise11PassThroughES8_NS7_7AddReluELNS_25InMemoryDataOperationEnumE0ENS_16TensorDescriptorINS5_IJNS_5EmbedINS5_IJiiiEEESD_Lb0EEENS_11PassThroughIiEENS_3PadIiiiLb0EEESG_SG_NSC_INS5_IJiiEEESJ_Lb0EEESG_NS_23Merge_v2_magic_divisionISJ_EESM_NS_8RightPadIiiLb0EEESO_NS_7UnMergeISJ_Lb0EEESG_EEENS5_IJNS_8SequenceIJLi0EEEENSS_IJLi1EEEENSS_IJLi2EEEENSS_IJLi3EEEENSS_IJLi4EEEENSS_IJLi5EEEENSS_IJLi6EEEENSS_IJLi7ELi9EEEENSS_IJLi8ELi10EEEENSS_IJLi11EEEENSS_IJLi12EEEENSS_IJLi14EEEENSS_IJLi13EEEEEEENS5_IJNSS_IJLi1ELi2ELi3EEEESX_SY_SZ_NSS_IJLi7EEEENSS_IJLi8ELi9EEEENSS_IJLi10EEEES12_S13_S15_S14_NSS_IJLi15ELi16EEEENSS_IJLi17EEEEEEENSS_IJLi15ELi17ELi16EEEElEENSB_INS5_IJSQ_SO_SO_SQ_SG_EEENS5_IJST_SU_SV_SX_SW_EEENS5_IJNSS_IJLi1ELi2EEEESW_SX_NSS_IJLi5ELi6EEEES18_EEENSS_IJLi5ELi7ELi6EEEElEENSB_INS5_IJSK_SO_SO_EEENS5_IJST_SU_SV_EEENS5_IJS1I_SW_SX_EEENSS_IJLi3ELi4EEEElEELi128ELi128ELi16ELi2ELi4ELi4ELi1ENSS_IJLi8ELi2EEEES1S_NSS_IJLi8ELi1ELi1ELi2EEEENSS_IJLi2ELi1ELi128ELi1EEEENSS_IJLi1ELi2ELi0ELi3EEEES1V_NSS_IJLi4ELi1ELi1ELi2EEEES1V_NSS_IJLi1ELi1ELi1ELi2EEEES1T_S1U_S1V_S1V_S1W_S1V_S1X_NSS_IJLi0ELi1ELi2ELi3ELi4ELi5EEEELi5ELi4EEEDF16_NS5_IJPKDF16_EEEDF16_S8_S8_S9_NSB_INS5_IJSE_SG_SI_SG_SG_SK_SG_SM_SM_SO_SO_SQ_SG_SG_NSP_INS5_IJiNS_17integral_constantIiLi128EEEEEELb0EEENSF_INS23_IiLi2EEEEEEEENS5_IJST_SU_SV_SW_SX_SY_SZ_S10_S11_S12_S13_S14_S15_NSS_IJLi15EEEES1C_NSS_IJLi16EEEEEEENS5_IJS17_SX_SY_SZ_S18_S19_S1A_S12_S13_S15_S14_S1B_S1C_NSS_IJLi18EEEENSS_IJLi19ELi20EEEENSS_IJLi21EEEEEEENSS_IJLi18ELi19ELi20ELi21EEEElEENSB_INS5_IJSQ_SO_SO_SQ_SG_SG_S26_S28_EEENS5_IJST_SU_SV_SX_SW_SY_S18_SZ_EEENS5_IJS1I_SW_SX_S1J_S18_NSS_IJLi8EEEENSS_IJLi9ELi10EEEES12_EEENSS_IJLi8ELi9ELi10ELi11EEEElEENS5_IJNSB_INS5_IJSK_SO_SO_NSP_INS5_IJiS27_NS23_IiLi64EEEEEELb0EEES2S_EEENS5_IJST_SU_SV_SW_SX_EEENS5_IJS1I_SW_SX_NSS_IJLi5ELi6ELi7EEEENSS_IJLi8ELi9ELi10EEEEEEENSS_IJLi5ELi6ELi7ELi8ELi9ELi10EEEElEEEEES2Z_NS_31BlockToCTileMap_M00_N00_M01_N01ILi128ELi128ES1R_Lb0EEENS1_30ComputePtrOffsetOfStridedBatchILi1ELi1ELi1EvEELb0ELb1EEEvPKT0_S37_T1_PT2_T3_T4_T5_iT6_T7_T8_T9_T10_T11_.kd
    .uniform_work_group_size: 1
    .uses_dynamic_stack: false
    .vgpr_count:     183
    .vgpr_spill_count: 0
    .wavefront_size: 32
    .workgroup_processor_mode: 1
  - .args:
      - .address_space:  global
        .offset:         0
        .size:           8
        .value_kind:     global_buffer
      - .address_space:  global
        .offset:         8
        .size:           8
        .value_kind:     global_buffer
      - .address_space:  global
        .offset:         16
        .size:           8
        .value_kind:     global_buffer
      - .address_space:  global
        .offset:         24
        .size:           8
        .value_kind:     global_buffer
      - .offset:         32
        .size:           1
        .value_kind:     by_value
      - .offset:         33
        .size:           1
        .value_kind:     by_value
      - .offset:         34
        .size:           1
        .value_kind:     by_value
      - .offset:         36
        .size:           4
        .value_kind:     by_value
      - .offset:         40
        .size:           200
        .value_kind:     by_value
      - .offset:         240
        .size:           96
        .value_kind:     by_value
      - .offset:         336
        .size:           80
        .value_kind:     by_value
      - .offset:         416
        .size:           80
        .value_kind:     by_value
      - .offset:         496
        .size:           112
        .value_kind:     by_value
      - .offset:         608
        .size:           40
        .value_kind:     by_value
      - .offset:         648
        .size:           4
        .value_kind:     hidden_block_count_x
      - .offset:         652
        .size:           4
        .value_kind:     hidden_block_count_y
      - .offset:         656
        .size:           4
        .value_kind:     hidden_block_count_z
      - .offset:         660
        .size:           2
        .value_kind:     hidden_group_size_x
      - .offset:         662
        .size:           2
        .value_kind:     hidden_group_size_y
      - .offset:         664
        .size:           2
        .value_kind:     hidden_group_size_z
      - .offset:         666
        .size:           2
        .value_kind:     hidden_remainder_x
      - .offset:         668
        .size:           2
        .value_kind:     hidden_remainder_y
      - .offset:         670
        .size:           2
        .value_kind:     hidden_remainder_z
      - .offset:         688
        .size:           8
        .value_kind:     hidden_global_offset_x
      - .offset:         696
        .size:           8
        .value_kind:     hidden_global_offset_y
      - .offset:         704
        .size:           8
        .value_kind:     hidden_global_offset_z
      - .offset:         712
        .size:           2
        .value_kind:     hidden_grid_dims
    .group_segment_fixed_size: 32768
    .kernarg_segment_align: 8
    .kernarg_segment_size: 904
    .language:       OpenCL C
    .language_version:
      - 2
      - 0
    .max_flat_workgroup_size: 256
    .name:           _ZN2ck16tensor_operation6device12_GLOBAL__N_137kernel_grouped_conv_fwd_dl_multiple_dINS_32GridwiseGemmDlMultipleD_km_kn_mnILi256EDF16_fNS_5TupleIJDF16_EEEDF16_NS0_12element_wise11PassThroughES8_NS7_7AddReluELNS_25InMemoryDataOperationEnumE0ENS_16TensorDescriptorINS5_IJNS_5EmbedINS5_IJiiiEEESD_Lb0EEENS_11PassThroughIiEENS_3PadIiiiLb0EEESG_SG_NSC_INS5_IJiiEEESJ_Lb0EEESG_NS_23Merge_v2_magic_divisionISJ_EESM_NS_8RightPadIiiLb0EEESO_NS_7UnMergeISJ_Lb0EEESG_EEENS5_IJNS_8SequenceIJLi0EEEENSS_IJLi1EEEENSS_IJLi2EEEENSS_IJLi3EEEENSS_IJLi4EEEENSS_IJLi5EEEENSS_IJLi6EEEENSS_IJLi7ELi9EEEENSS_IJLi8ELi10EEEENSS_IJLi11EEEENSS_IJLi12EEEENSS_IJLi14EEEENSS_IJLi13EEEEEEENS5_IJNSS_IJLi1ELi2ELi3EEEESX_SY_SZ_NSS_IJLi7EEEENSS_IJLi8ELi9EEEENSS_IJLi10EEEES12_S13_S15_S14_NSS_IJLi15ELi16EEEENSS_IJLi17EEEEEEENSS_IJLi15ELi17ELi16EEEElEENSB_INS5_IJSQ_SO_SO_SQ_SG_EEENS5_IJST_SU_SV_SX_SW_EEENS5_IJNSS_IJLi1ELi2EEEESW_SX_NSS_IJLi5ELi6EEEES18_EEENSS_IJLi5ELi7ELi6EEEElEENSB_INS5_IJSK_SO_SO_EEENS5_IJST_SU_SV_EEENS5_IJS1I_SW_SX_EEENSS_IJLi3ELi4EEEElEELi128ELi128ELi16ELi2ELi4ELi4ELi1ENSS_IJLi8ELi2EEEES1S_NSS_IJLi8ELi1ELi1ELi2EEEENSS_IJLi2ELi1ELi128ELi1EEEENSS_IJLi1ELi2ELi0ELi3EEEES1V_NSS_IJLi4ELi1ELi1ELi2EEEES1V_NSS_IJLi1ELi1ELi1ELi2EEEES1T_S1U_S1V_S1V_S1W_S1V_S1X_NSS_IJLi0ELi1ELi2ELi3ELi4ELi5EEEELi5ELi4EEEDF16_NS5_IJPKDF16_EEEDF16_S8_S8_S9_NSB_INS5_IJSE_SG_SI_SG_SG_SK_SG_SM_SM_SO_SO_SQ_SG_SG_NSP_INS5_IJiNS_17integral_constantIiLi128EEEEEELb0EEENSF_INS23_IiLi2EEEEEEEENS5_IJST_SU_SV_SW_SX_SY_SZ_S10_S11_S12_S13_S14_S15_NSS_IJLi15EEEES1C_NSS_IJLi16EEEEEEENS5_IJS17_SX_SY_SZ_S18_S19_S1A_S12_S13_S15_S14_S1B_S1C_NSS_IJLi18EEEENSS_IJLi19ELi20EEEENSS_IJLi21EEEEEEENSS_IJLi18ELi19ELi20ELi21EEEElEENSB_INS5_IJSQ_SO_SO_SQ_SG_SG_S26_S28_EEENS5_IJST_SU_SV_SX_SW_SY_S18_SZ_EEENS5_IJS1I_SW_SX_S1J_S18_NSS_IJLi8EEEENSS_IJLi9ELi10EEEES12_EEENSS_IJLi8ELi9ELi10ELi11EEEElEENS5_IJNSB_INS5_IJSK_SO_SO_NSP_INS5_IJiS27_NS23_IiLi64EEEEEELb0EEES2S_EEENS5_IJST_SU_SV_SW_SX_EEENS5_IJS1I_SW_SX_NSS_IJLi5ELi6ELi7EEEENSS_IJLi8ELi9ELi10EEEEEEENSS_IJLi5ELi6ELi7ELi8ELi9ELi10EEEElEEEEES2Z_NS_31BlockToCTileMap_M00_N00_M01_N01ILi128ELi128ES1R_Lb0EEENS1_30ComputePtrOffsetOfStridedBatchILi1ELi1ELi1EvEELb0ELb0EEEvPKT0_S37_T1_PT2_T3_T4_T5_iT6_T7_T8_T9_T10_T11_
    .private_segment_fixed_size: 0
    .sgpr_count:     46
    .sgpr_spill_count: 0
    .symbol:         _ZN2ck16tensor_operation6device12_GLOBAL__N_137kernel_grouped_conv_fwd_dl_multiple_dINS_32GridwiseGemmDlMultipleD_km_kn_mnILi256EDF16_fNS_5TupleIJDF16_EEEDF16_NS0_12element_wise11PassThroughES8_NS7_7AddReluELNS_25InMemoryDataOperationEnumE0ENS_16TensorDescriptorINS5_IJNS_5EmbedINS5_IJiiiEEESD_Lb0EEENS_11PassThroughIiEENS_3PadIiiiLb0EEESG_SG_NSC_INS5_IJiiEEESJ_Lb0EEESG_NS_23Merge_v2_magic_divisionISJ_EESM_NS_8RightPadIiiLb0EEESO_NS_7UnMergeISJ_Lb0EEESG_EEENS5_IJNS_8SequenceIJLi0EEEENSS_IJLi1EEEENSS_IJLi2EEEENSS_IJLi3EEEENSS_IJLi4EEEENSS_IJLi5EEEENSS_IJLi6EEEENSS_IJLi7ELi9EEEENSS_IJLi8ELi10EEEENSS_IJLi11EEEENSS_IJLi12EEEENSS_IJLi14EEEENSS_IJLi13EEEEEEENS5_IJNSS_IJLi1ELi2ELi3EEEESX_SY_SZ_NSS_IJLi7EEEENSS_IJLi8ELi9EEEENSS_IJLi10EEEES12_S13_S15_S14_NSS_IJLi15ELi16EEEENSS_IJLi17EEEEEEENSS_IJLi15ELi17ELi16EEEElEENSB_INS5_IJSQ_SO_SO_SQ_SG_EEENS5_IJST_SU_SV_SX_SW_EEENS5_IJNSS_IJLi1ELi2EEEESW_SX_NSS_IJLi5ELi6EEEES18_EEENSS_IJLi5ELi7ELi6EEEElEENSB_INS5_IJSK_SO_SO_EEENS5_IJST_SU_SV_EEENS5_IJS1I_SW_SX_EEENSS_IJLi3ELi4EEEElEELi128ELi128ELi16ELi2ELi4ELi4ELi1ENSS_IJLi8ELi2EEEES1S_NSS_IJLi8ELi1ELi1ELi2EEEENSS_IJLi2ELi1ELi128ELi1EEEENSS_IJLi1ELi2ELi0ELi3EEEES1V_NSS_IJLi4ELi1ELi1ELi2EEEES1V_NSS_IJLi1ELi1ELi1ELi2EEEES1T_S1U_S1V_S1V_S1W_S1V_S1X_NSS_IJLi0ELi1ELi2ELi3ELi4ELi5EEEELi5ELi4EEEDF16_NS5_IJPKDF16_EEEDF16_S8_S8_S9_NSB_INS5_IJSE_SG_SI_SG_SG_SK_SG_SM_SM_SO_SO_SQ_SG_SG_NSP_INS5_IJiNS_17integral_constantIiLi128EEEEEELb0EEENSF_INS23_IiLi2EEEEEEEENS5_IJST_SU_SV_SW_SX_SY_SZ_S10_S11_S12_S13_S14_S15_NSS_IJLi15EEEES1C_NSS_IJLi16EEEEEEENS5_IJS17_SX_SY_SZ_S18_S19_S1A_S12_S13_S15_S14_S1B_S1C_NSS_IJLi18EEEENSS_IJLi19ELi20EEEENSS_IJLi21EEEEEEENSS_IJLi18ELi19ELi20ELi21EEEElEENSB_INS5_IJSQ_SO_SO_SQ_SG_SG_S26_S28_EEENS5_IJST_SU_SV_SX_SW_SY_S18_SZ_EEENS5_IJS1I_SW_SX_S1J_S18_NSS_IJLi8EEEENSS_IJLi9ELi10EEEES12_EEENSS_IJLi8ELi9ELi10ELi11EEEElEENS5_IJNSB_INS5_IJSK_SO_SO_NSP_INS5_IJiS27_NS23_IiLi64EEEEEELb0EEES2S_EEENS5_IJST_SU_SV_SW_SX_EEENS5_IJS1I_SW_SX_NSS_IJLi5ELi6ELi7EEEENSS_IJLi8ELi9ELi10EEEEEEENSS_IJLi5ELi6ELi7ELi8ELi9ELi10EEEElEEEEES2Z_NS_31BlockToCTileMap_M00_N00_M01_N01ILi128ELi128ES1R_Lb0EEENS1_30ComputePtrOffsetOfStridedBatchILi1ELi1ELi1EvEELb0ELb0EEEvPKT0_S37_T1_PT2_T3_T4_T5_iT6_T7_T8_T9_T10_T11_.kd
    .uniform_work_group_size: 1
    .uses_dynamic_stack: false
    .vgpr_count:     148
    .vgpr_spill_count: 0
    .wavefront_size: 32
    .workgroup_processor_mode: 1
  - .args:
      - .address_space:  global
        .offset:         0
        .size:           8
        .value_kind:     global_buffer
      - .address_space:  global
        .offset:         8
        .size:           8
        .value_kind:     global_buffer
      - .address_space:  global
        .offset:         16
        .size:           8
        .value_kind:     global_buffer
      - .address_space:  global
        .offset:         24
        .size:           8
        .value_kind:     global_buffer
      - .offset:         32
        .size:           1
        .value_kind:     by_value
      - .offset:         33
        .size:           1
        .value_kind:     by_value
      - .offset:         34
        .size:           1
        .value_kind:     by_value
      - .offset:         36
        .size:           4
        .value_kind:     by_value
      - .offset:         40
        .size:           264
        .value_kind:     by_value
      - .offset:         304
        .size:           96
        .value_kind:     by_value
      - .offset:         400
        .size:           80
        .value_kind:     by_value
      - .offset:         480
        .size:           80
        .value_kind:     by_value
      - .offset:         560
        .size:           112
        .value_kind:     by_value
      - .offset:         672
        .size:           40
        .value_kind:     by_value
      - .offset:         712
        .size:           4
        .value_kind:     hidden_block_count_x
      - .offset:         716
        .size:           4
        .value_kind:     hidden_block_count_y
      - .offset:         720
        .size:           4
        .value_kind:     hidden_block_count_z
      - .offset:         724
        .size:           2
        .value_kind:     hidden_group_size_x
      - .offset:         726
        .size:           2
        .value_kind:     hidden_group_size_y
      - .offset:         728
        .size:           2
        .value_kind:     hidden_group_size_z
      - .offset:         730
        .size:           2
        .value_kind:     hidden_remainder_x
      - .offset:         732
        .size:           2
        .value_kind:     hidden_remainder_y
      - .offset:         734
        .size:           2
        .value_kind:     hidden_remainder_z
      - .offset:         752
        .size:           8
        .value_kind:     hidden_global_offset_x
      - .offset:         760
        .size:           8
        .value_kind:     hidden_global_offset_y
      - .offset:         768
        .size:           8
        .value_kind:     hidden_global_offset_z
      - .offset:         776
        .size:           2
        .value_kind:     hidden_grid_dims
    .group_segment_fixed_size: 32768
    .kernarg_segment_align: 8
    .kernarg_segment_size: 968
    .language:       OpenCL C
    .language_version:
      - 2
      - 0
    .max_flat_workgroup_size: 256
    .name:           _ZN2ck16tensor_operation6device12_GLOBAL__N_137kernel_grouped_conv_fwd_dl_multiple_dINS_32GridwiseGemmDlMultipleD_km_kn_mnILi256EDF16_fNS_5TupleIJDF16_EEEDF16_NS0_12element_wise11PassThroughES8_NS7_7AddReluELNS_25InMemoryDataOperationEnumE0ENS_16TensorDescriptorINS5_IJNS_5EmbedINS5_IJiiiiEEESD_Lb0EEENS_11PassThroughIiEENS_3PadIiiiLb0EEESI_SG_SG_NSC_INS5_IJiiEEESJ_Lb0EEESK_SG_NS_23Merge_v2_magic_divisionINS5_IJiiiEEEEESN_NS_8RightPadIiiLb0EEESP_NS_7UnMergeISJ_Lb0EEESG_EEENS5_IJNS_8SequenceIJLi0EEEENST_IJLi1EEEENST_IJLi2EEEENST_IJLi3EEEENST_IJLi4EEEENST_IJLi5EEEENST_IJLi6EEEENST_IJLi7EEEENST_IJLi8EEEENST_IJLi9ELi11ELi13EEEENST_IJLi10ELi12ELi14EEEENST_IJLi15EEEENST_IJLi16EEEENST_IJLi18EEEENST_IJLi17EEEEEEENS5_IJNST_IJLi1ELi2ELi3ELi4EEEESZ_S10_S11_S12_NST_IJLi9EEEENST_IJLi10ELi11EEEENST_IJLi12ELi13EEEENST_IJLi14EEEES15_S16_S18_S17_NST_IJLi19ELi20EEEENST_IJLi21EEEEEEENST_IJLi19ELi21ELi20EEEElEENSB_INS5_IJSR_SP_SP_SR_SG_EEENS5_IJSU_SV_SW_SY_SX_EEENS5_IJNST_IJLi1ELi2EEEESX_SY_NST_IJLi5ELi6EEEES11_EEENST_IJLi5ELi7ELi6EEEElEENSB_INS5_IJSK_SP_SP_EEENS5_IJSU_SV_SW_EEENS5_IJS1M_SX_SY_EEENST_IJLi3ELi4EEEElEELi128ELi128ELi16ELi2ELi4ELi4ELi1ENST_IJLi8ELi2EEEES1W_NST_IJLi8ELi1ELi1ELi2EEEENST_IJLi2ELi1ELi128ELi1EEEENST_IJLi1ELi2ELi0ELi3EEEES1Z_NST_IJLi4ELi1ELi1ELi2EEEES1Z_NST_IJLi1ELi1ELi1ELi2EEEES1X_S1Y_S1Z_S1Z_S20_S1Z_S21_NST_IJLi0ELi1ELi2ELi3ELi4ELi5EEEELi5ELi4EEEDF16_NS5_IJPKDF16_EEEDF16_S8_S8_S9_NSB_INS5_IJSE_SG_SI_SI_SG_SG_SK_SK_SG_SN_SN_SP_SP_SR_SG_SG_NSQ_INS5_IJiNS_17integral_constantIiLi128EEEEEELb0EEENSF_INS27_IiLi2EEEEEEEENS5_IJSU_SV_SW_SX_SY_SZ_S10_S11_S12_S13_S14_S15_S16_S17_S18_NST_IJLi19EEEES1G_NST_IJLi20EEEEEEENS5_IJS1A_SZ_S10_S11_S12_S1B_S1C_S1D_S1E_S15_S16_S18_S17_S1F_S1G_NST_IJLi22EEEENST_IJLi23ELi24EEEENST_IJLi25EEEEEEENST_IJLi22ELi23ELi24ELi25EEEElEENSB_INS5_IJSR_SP_SP_SR_SG_SG_S2A_S2C_EEENS5_IJSU_SV_SW_SY_SX_SZ_S11_S10_EEENS5_IJS1M_SX_SY_S1N_S11_S12_NST_IJLi9ELi10EEEENST_IJLi11EEEEEEENST_IJLi8ELi9ELi10ELi11EEEElEENS5_IJNSB_INS5_IJSK_SP_SP_NSQ_INS5_IJiS2B_NS27_IiLi64EEEEEELb0EEES2W_EEENS5_IJSU_SV_SW_SX_SY_EEENS5_IJS1M_SX_SY_NST_IJLi5ELi6ELi7EEEENST_IJLi8ELi9ELi10EEEEEEENST_IJLi5ELi6ELi7ELi8ELi9ELi10EEEElEEEEES33_NS_31BlockToCTileMap_M00_N00_M01_N01ILi128ELi128ES1V_Lb0EEENS1_30ComputePtrOffsetOfStridedBatchILi1ELi1ELi1EvEELb1ELb1EEEvPKT0_S3B_T1_PT2_T3_T4_T5_iT6_T7_T8_T9_T10_T11_
    .private_segment_fixed_size: 0
    .sgpr_count:     74
    .sgpr_spill_count: 0
    .symbol:         _ZN2ck16tensor_operation6device12_GLOBAL__N_137kernel_grouped_conv_fwd_dl_multiple_dINS_32GridwiseGemmDlMultipleD_km_kn_mnILi256EDF16_fNS_5TupleIJDF16_EEEDF16_NS0_12element_wise11PassThroughES8_NS7_7AddReluELNS_25InMemoryDataOperationEnumE0ENS_16TensorDescriptorINS5_IJNS_5EmbedINS5_IJiiiiEEESD_Lb0EEENS_11PassThroughIiEENS_3PadIiiiLb0EEESI_SG_SG_NSC_INS5_IJiiEEESJ_Lb0EEESK_SG_NS_23Merge_v2_magic_divisionINS5_IJiiiEEEEESN_NS_8RightPadIiiLb0EEESP_NS_7UnMergeISJ_Lb0EEESG_EEENS5_IJNS_8SequenceIJLi0EEEENST_IJLi1EEEENST_IJLi2EEEENST_IJLi3EEEENST_IJLi4EEEENST_IJLi5EEEENST_IJLi6EEEENST_IJLi7EEEENST_IJLi8EEEENST_IJLi9ELi11ELi13EEEENST_IJLi10ELi12ELi14EEEENST_IJLi15EEEENST_IJLi16EEEENST_IJLi18EEEENST_IJLi17EEEEEEENS5_IJNST_IJLi1ELi2ELi3ELi4EEEESZ_S10_S11_S12_NST_IJLi9EEEENST_IJLi10ELi11EEEENST_IJLi12ELi13EEEENST_IJLi14EEEES15_S16_S18_S17_NST_IJLi19ELi20EEEENST_IJLi21EEEEEEENST_IJLi19ELi21ELi20EEEElEENSB_INS5_IJSR_SP_SP_SR_SG_EEENS5_IJSU_SV_SW_SY_SX_EEENS5_IJNST_IJLi1ELi2EEEESX_SY_NST_IJLi5ELi6EEEES11_EEENST_IJLi5ELi7ELi6EEEElEENSB_INS5_IJSK_SP_SP_EEENS5_IJSU_SV_SW_EEENS5_IJS1M_SX_SY_EEENST_IJLi3ELi4EEEElEELi128ELi128ELi16ELi2ELi4ELi4ELi1ENST_IJLi8ELi2EEEES1W_NST_IJLi8ELi1ELi1ELi2EEEENST_IJLi2ELi1ELi128ELi1EEEENST_IJLi1ELi2ELi0ELi3EEEES1Z_NST_IJLi4ELi1ELi1ELi2EEEES1Z_NST_IJLi1ELi1ELi1ELi2EEEES1X_S1Y_S1Z_S1Z_S20_S1Z_S21_NST_IJLi0ELi1ELi2ELi3ELi4ELi5EEEELi5ELi4EEEDF16_NS5_IJPKDF16_EEEDF16_S8_S8_S9_NSB_INS5_IJSE_SG_SI_SI_SG_SG_SK_SK_SG_SN_SN_SP_SP_SR_SG_SG_NSQ_INS5_IJiNS_17integral_constantIiLi128EEEEEELb0EEENSF_INS27_IiLi2EEEEEEEENS5_IJSU_SV_SW_SX_SY_SZ_S10_S11_S12_S13_S14_S15_S16_S17_S18_NST_IJLi19EEEES1G_NST_IJLi20EEEEEEENS5_IJS1A_SZ_S10_S11_S12_S1B_S1C_S1D_S1E_S15_S16_S18_S17_S1F_S1G_NST_IJLi22EEEENST_IJLi23ELi24EEEENST_IJLi25EEEEEEENST_IJLi22ELi23ELi24ELi25EEEElEENSB_INS5_IJSR_SP_SP_SR_SG_SG_S2A_S2C_EEENS5_IJSU_SV_SW_SY_SX_SZ_S11_S10_EEENS5_IJS1M_SX_SY_S1N_S11_S12_NST_IJLi9ELi10EEEENST_IJLi11EEEEEEENST_IJLi8ELi9ELi10ELi11EEEElEENS5_IJNSB_INS5_IJSK_SP_SP_NSQ_INS5_IJiS2B_NS27_IiLi64EEEEEELb0EEES2W_EEENS5_IJSU_SV_SW_SX_SY_EEENS5_IJS1M_SX_SY_NST_IJLi5ELi6ELi7EEEENST_IJLi8ELi9ELi10EEEEEEENST_IJLi5ELi6ELi7ELi8ELi9ELi10EEEElEEEEES33_NS_31BlockToCTileMap_M00_N00_M01_N01ILi128ELi128ES1V_Lb0EEENS1_30ComputePtrOffsetOfStridedBatchILi1ELi1ELi1EvEELb1ELb1EEEvPKT0_S3B_T1_PT2_T3_T4_T5_iT6_T7_T8_T9_T10_T11_.kd
    .uniform_work_group_size: 1
    .uses_dynamic_stack: false
    .vgpr_count:     178
    .vgpr_spill_count: 0
    .wavefront_size: 32
    .workgroup_processor_mode: 1
  - .args:
      - .address_space:  global
        .offset:         0
        .size:           8
        .value_kind:     global_buffer
      - .address_space:  global
        .offset:         8
        .size:           8
        .value_kind:     global_buffer
      - .address_space:  global
        .offset:         16
        .size:           8
        .value_kind:     global_buffer
      - .address_space:  global
        .offset:         24
        .size:           8
        .value_kind:     global_buffer
      - .offset:         32
        .size:           1
        .value_kind:     by_value
      - .offset:         33
        .size:           1
        .value_kind:     by_value
      - .offset:         34
        .size:           1
        .value_kind:     by_value
      - .offset:         36
        .size:           4
        .value_kind:     by_value
      - .offset:         40
        .size:           264
        .value_kind:     by_value
      - .offset:         304
        .size:           96
        .value_kind:     by_value
      - .offset:         400
        .size:           80
        .value_kind:     by_value
      - .offset:         480
        .size:           80
        .value_kind:     by_value
      - .offset:         560
        .size:           112
        .value_kind:     by_value
      - .offset:         672
        .size:           40
        .value_kind:     by_value
      - .offset:         712
        .size:           4
        .value_kind:     hidden_block_count_x
      - .offset:         716
        .size:           4
        .value_kind:     hidden_block_count_y
      - .offset:         720
        .size:           4
        .value_kind:     hidden_block_count_z
      - .offset:         724
        .size:           2
        .value_kind:     hidden_group_size_x
      - .offset:         726
        .size:           2
        .value_kind:     hidden_group_size_y
      - .offset:         728
        .size:           2
        .value_kind:     hidden_group_size_z
      - .offset:         730
        .size:           2
        .value_kind:     hidden_remainder_x
      - .offset:         732
        .size:           2
        .value_kind:     hidden_remainder_y
      - .offset:         734
        .size:           2
        .value_kind:     hidden_remainder_z
      - .offset:         752
        .size:           8
        .value_kind:     hidden_global_offset_x
      - .offset:         760
        .size:           8
        .value_kind:     hidden_global_offset_y
      - .offset:         768
        .size:           8
        .value_kind:     hidden_global_offset_z
      - .offset:         776
        .size:           2
        .value_kind:     hidden_grid_dims
    .group_segment_fixed_size: 32768
    .kernarg_segment_align: 8
    .kernarg_segment_size: 968
    .language:       OpenCL C
    .language_version:
      - 2
      - 0
    .max_flat_workgroup_size: 256
    .name:           _ZN2ck16tensor_operation6device12_GLOBAL__N_137kernel_grouped_conv_fwd_dl_multiple_dINS_32GridwiseGemmDlMultipleD_km_kn_mnILi256EDF16_fNS_5TupleIJDF16_EEEDF16_NS0_12element_wise11PassThroughES8_NS7_7AddReluELNS_25InMemoryDataOperationEnumE0ENS_16TensorDescriptorINS5_IJNS_5EmbedINS5_IJiiiiEEESD_Lb0EEENS_11PassThroughIiEENS_3PadIiiiLb0EEESI_SG_SG_NSC_INS5_IJiiEEESJ_Lb0EEESK_SG_NS_23Merge_v2_magic_divisionINS5_IJiiiEEEEESN_NS_8RightPadIiiLb0EEESP_NS_7UnMergeISJ_Lb0EEESG_EEENS5_IJNS_8SequenceIJLi0EEEENST_IJLi1EEEENST_IJLi2EEEENST_IJLi3EEEENST_IJLi4EEEENST_IJLi5EEEENST_IJLi6EEEENST_IJLi7EEEENST_IJLi8EEEENST_IJLi9ELi11ELi13EEEENST_IJLi10ELi12ELi14EEEENST_IJLi15EEEENST_IJLi16EEEENST_IJLi18EEEENST_IJLi17EEEEEEENS5_IJNST_IJLi1ELi2ELi3ELi4EEEESZ_S10_S11_S12_NST_IJLi9EEEENST_IJLi10ELi11EEEENST_IJLi12ELi13EEEENST_IJLi14EEEES15_S16_S18_S17_NST_IJLi19ELi20EEEENST_IJLi21EEEEEEENST_IJLi19ELi21ELi20EEEElEENSB_INS5_IJSR_SP_SP_SR_SG_EEENS5_IJSU_SV_SW_SY_SX_EEENS5_IJNST_IJLi1ELi2EEEESX_SY_NST_IJLi5ELi6EEEES11_EEENST_IJLi5ELi7ELi6EEEElEENSB_INS5_IJSK_SP_SP_EEENS5_IJSU_SV_SW_EEENS5_IJS1M_SX_SY_EEENST_IJLi3ELi4EEEElEELi128ELi128ELi16ELi2ELi4ELi4ELi1ENST_IJLi8ELi2EEEES1W_NST_IJLi8ELi1ELi1ELi2EEEENST_IJLi2ELi1ELi128ELi1EEEENST_IJLi1ELi2ELi0ELi3EEEES1Z_NST_IJLi4ELi1ELi1ELi2EEEES1Z_NST_IJLi1ELi1ELi1ELi2EEEES1X_S1Y_S1Z_S1Z_S20_S1Z_S21_NST_IJLi0ELi1ELi2ELi3ELi4ELi5EEEELi5ELi4EEEDF16_NS5_IJPKDF16_EEEDF16_S8_S8_S9_NSB_INS5_IJSE_SG_SI_SI_SG_SG_SK_SK_SG_SN_SN_SP_SP_SR_SG_SG_NSQ_INS5_IJiNS_17integral_constantIiLi128EEEEEELb0EEENSF_INS27_IiLi2EEEEEEEENS5_IJSU_SV_SW_SX_SY_SZ_S10_S11_S12_S13_S14_S15_S16_S17_S18_NST_IJLi19EEEES1G_NST_IJLi20EEEEEEENS5_IJS1A_SZ_S10_S11_S12_S1B_S1C_S1D_S1E_S15_S16_S18_S17_S1F_S1G_NST_IJLi22EEEENST_IJLi23ELi24EEEENST_IJLi25EEEEEEENST_IJLi22ELi23ELi24ELi25EEEElEENSB_INS5_IJSR_SP_SP_SR_SG_SG_S2A_S2C_EEENS5_IJSU_SV_SW_SY_SX_SZ_S11_S10_EEENS5_IJS1M_SX_SY_S1N_S11_S12_NST_IJLi9ELi10EEEENST_IJLi11EEEEEEENST_IJLi8ELi9ELi10ELi11EEEElEENS5_IJNSB_INS5_IJSK_SP_SP_NSQ_INS5_IJiS2B_NS27_IiLi64EEEEEELb0EEES2W_EEENS5_IJSU_SV_SW_SX_SY_EEENS5_IJS1M_SX_SY_NST_IJLi5ELi6ELi7EEEENST_IJLi8ELi9ELi10EEEEEEENST_IJLi5ELi6ELi7ELi8ELi9ELi10EEEElEEEEES33_NS_31BlockToCTileMap_M00_N00_M01_N01ILi128ELi128ES1V_Lb0EEENS1_30ComputePtrOffsetOfStridedBatchILi1ELi1ELi1EvEELb1ELb0EEEvPKT0_S3B_T1_PT2_T3_T4_T5_iT6_T7_T8_T9_T10_T11_
    .private_segment_fixed_size: 0
    .sgpr_count:     71
    .sgpr_spill_count: 0
    .symbol:         _ZN2ck16tensor_operation6device12_GLOBAL__N_137kernel_grouped_conv_fwd_dl_multiple_dINS_32GridwiseGemmDlMultipleD_km_kn_mnILi256EDF16_fNS_5TupleIJDF16_EEEDF16_NS0_12element_wise11PassThroughES8_NS7_7AddReluELNS_25InMemoryDataOperationEnumE0ENS_16TensorDescriptorINS5_IJNS_5EmbedINS5_IJiiiiEEESD_Lb0EEENS_11PassThroughIiEENS_3PadIiiiLb0EEESI_SG_SG_NSC_INS5_IJiiEEESJ_Lb0EEESK_SG_NS_23Merge_v2_magic_divisionINS5_IJiiiEEEEESN_NS_8RightPadIiiLb0EEESP_NS_7UnMergeISJ_Lb0EEESG_EEENS5_IJNS_8SequenceIJLi0EEEENST_IJLi1EEEENST_IJLi2EEEENST_IJLi3EEEENST_IJLi4EEEENST_IJLi5EEEENST_IJLi6EEEENST_IJLi7EEEENST_IJLi8EEEENST_IJLi9ELi11ELi13EEEENST_IJLi10ELi12ELi14EEEENST_IJLi15EEEENST_IJLi16EEEENST_IJLi18EEEENST_IJLi17EEEEEEENS5_IJNST_IJLi1ELi2ELi3ELi4EEEESZ_S10_S11_S12_NST_IJLi9EEEENST_IJLi10ELi11EEEENST_IJLi12ELi13EEEENST_IJLi14EEEES15_S16_S18_S17_NST_IJLi19ELi20EEEENST_IJLi21EEEEEEENST_IJLi19ELi21ELi20EEEElEENSB_INS5_IJSR_SP_SP_SR_SG_EEENS5_IJSU_SV_SW_SY_SX_EEENS5_IJNST_IJLi1ELi2EEEESX_SY_NST_IJLi5ELi6EEEES11_EEENST_IJLi5ELi7ELi6EEEElEENSB_INS5_IJSK_SP_SP_EEENS5_IJSU_SV_SW_EEENS5_IJS1M_SX_SY_EEENST_IJLi3ELi4EEEElEELi128ELi128ELi16ELi2ELi4ELi4ELi1ENST_IJLi8ELi2EEEES1W_NST_IJLi8ELi1ELi1ELi2EEEENST_IJLi2ELi1ELi128ELi1EEEENST_IJLi1ELi2ELi0ELi3EEEES1Z_NST_IJLi4ELi1ELi1ELi2EEEES1Z_NST_IJLi1ELi1ELi1ELi2EEEES1X_S1Y_S1Z_S1Z_S20_S1Z_S21_NST_IJLi0ELi1ELi2ELi3ELi4ELi5EEEELi5ELi4EEEDF16_NS5_IJPKDF16_EEEDF16_S8_S8_S9_NSB_INS5_IJSE_SG_SI_SI_SG_SG_SK_SK_SG_SN_SN_SP_SP_SR_SG_SG_NSQ_INS5_IJiNS_17integral_constantIiLi128EEEEEELb0EEENSF_INS27_IiLi2EEEEEEEENS5_IJSU_SV_SW_SX_SY_SZ_S10_S11_S12_S13_S14_S15_S16_S17_S18_NST_IJLi19EEEES1G_NST_IJLi20EEEEEEENS5_IJS1A_SZ_S10_S11_S12_S1B_S1C_S1D_S1E_S15_S16_S18_S17_S1F_S1G_NST_IJLi22EEEENST_IJLi23ELi24EEEENST_IJLi25EEEEEEENST_IJLi22ELi23ELi24ELi25EEEElEENSB_INS5_IJSR_SP_SP_SR_SG_SG_S2A_S2C_EEENS5_IJSU_SV_SW_SY_SX_SZ_S11_S10_EEENS5_IJS1M_SX_SY_S1N_S11_S12_NST_IJLi9ELi10EEEENST_IJLi11EEEEEEENST_IJLi8ELi9ELi10ELi11EEEElEENS5_IJNSB_INS5_IJSK_SP_SP_NSQ_INS5_IJiS2B_NS27_IiLi64EEEEEELb0EEES2W_EEENS5_IJSU_SV_SW_SX_SY_EEENS5_IJS1M_SX_SY_NST_IJLi5ELi6ELi7EEEENST_IJLi8ELi9ELi10EEEEEEENST_IJLi5ELi6ELi7ELi8ELi9ELi10EEEElEEEEES33_NS_31BlockToCTileMap_M00_N00_M01_N01ILi128ELi128ES1V_Lb0EEENS1_30ComputePtrOffsetOfStridedBatchILi1ELi1ELi1EvEELb1ELb0EEEvPKT0_S3B_T1_PT2_T3_T4_T5_iT6_T7_T8_T9_T10_T11_.kd
    .uniform_work_group_size: 1
    .uses_dynamic_stack: false
    .vgpr_count:     130
    .vgpr_spill_count: 0
    .wavefront_size: 32
    .workgroup_processor_mode: 1
  - .args:
      - .address_space:  global
        .offset:         0
        .size:           8
        .value_kind:     global_buffer
      - .address_space:  global
        .offset:         8
        .size:           8
        .value_kind:     global_buffer
      - .address_space:  global
        .offset:         16
        .size:           8
        .value_kind:     global_buffer
      - .address_space:  global
        .offset:         24
        .size:           8
        .value_kind:     global_buffer
      - .offset:         32
        .size:           1
        .value_kind:     by_value
      - .offset:         33
        .size:           1
        .value_kind:     by_value
      - .offset:         34
        .size:           1
        .value_kind:     by_value
      - .offset:         36
        .size:           4
        .value_kind:     by_value
      - .offset:         40
        .size:           264
        .value_kind:     by_value
      - .offset:         304
        .size:           96
        .value_kind:     by_value
      - .offset:         400
        .size:           80
        .value_kind:     by_value
      - .offset:         480
        .size:           80
        .value_kind:     by_value
      - .offset:         560
        .size:           112
        .value_kind:     by_value
      - .offset:         672
        .size:           40
        .value_kind:     by_value
      - .offset:         712
        .size:           4
        .value_kind:     hidden_block_count_x
      - .offset:         716
        .size:           4
        .value_kind:     hidden_block_count_y
      - .offset:         720
        .size:           4
        .value_kind:     hidden_block_count_z
      - .offset:         724
        .size:           2
        .value_kind:     hidden_group_size_x
      - .offset:         726
        .size:           2
        .value_kind:     hidden_group_size_y
      - .offset:         728
        .size:           2
        .value_kind:     hidden_group_size_z
      - .offset:         730
        .size:           2
        .value_kind:     hidden_remainder_x
      - .offset:         732
        .size:           2
        .value_kind:     hidden_remainder_y
      - .offset:         734
        .size:           2
        .value_kind:     hidden_remainder_z
      - .offset:         752
        .size:           8
        .value_kind:     hidden_global_offset_x
      - .offset:         760
        .size:           8
        .value_kind:     hidden_global_offset_y
      - .offset:         768
        .size:           8
        .value_kind:     hidden_global_offset_z
      - .offset:         776
        .size:           2
        .value_kind:     hidden_grid_dims
    .group_segment_fixed_size: 32768
    .kernarg_segment_align: 8
    .kernarg_segment_size: 968
    .language:       OpenCL C
    .language_version:
      - 2
      - 0
    .max_flat_workgroup_size: 256
    .name:           _ZN2ck16tensor_operation6device12_GLOBAL__N_137kernel_grouped_conv_fwd_dl_multiple_dINS_32GridwiseGemmDlMultipleD_km_kn_mnILi256EDF16_fNS_5TupleIJDF16_EEEDF16_NS0_12element_wise11PassThroughES8_NS7_7AddReluELNS_25InMemoryDataOperationEnumE0ENS_16TensorDescriptorINS5_IJNS_5EmbedINS5_IJiiiiEEESD_Lb0EEENS_11PassThroughIiEENS_3PadIiiiLb0EEESI_SG_SG_NSC_INS5_IJiiEEESJ_Lb0EEESK_SG_NS_23Merge_v2_magic_divisionINS5_IJiiiEEEEESN_NS_8RightPadIiiLb0EEESP_NS_7UnMergeISJ_Lb0EEESG_EEENS5_IJNS_8SequenceIJLi0EEEENST_IJLi1EEEENST_IJLi2EEEENST_IJLi3EEEENST_IJLi4EEEENST_IJLi5EEEENST_IJLi6EEEENST_IJLi7EEEENST_IJLi8EEEENST_IJLi9ELi11ELi13EEEENST_IJLi10ELi12ELi14EEEENST_IJLi15EEEENST_IJLi16EEEENST_IJLi18EEEENST_IJLi17EEEEEEENS5_IJNST_IJLi1ELi2ELi3ELi4EEEESZ_S10_S11_S12_NST_IJLi9EEEENST_IJLi10ELi11EEEENST_IJLi12ELi13EEEENST_IJLi14EEEES15_S16_S18_S17_NST_IJLi19ELi20EEEENST_IJLi21EEEEEEENST_IJLi19ELi21ELi20EEEElEENSB_INS5_IJSR_SP_SP_SR_SG_EEENS5_IJSU_SV_SW_SY_SX_EEENS5_IJNST_IJLi1ELi2EEEESX_SY_NST_IJLi5ELi6EEEES11_EEENST_IJLi5ELi7ELi6EEEElEENSB_INS5_IJSK_SP_SP_EEENS5_IJSU_SV_SW_EEENS5_IJS1M_SX_SY_EEENST_IJLi3ELi4EEEElEELi128ELi128ELi16ELi2ELi4ELi4ELi1ENST_IJLi8ELi2EEEES1W_NST_IJLi8ELi1ELi1ELi2EEEENST_IJLi2ELi1ELi128ELi1EEEENST_IJLi1ELi2ELi0ELi3EEEES1Z_NST_IJLi4ELi1ELi1ELi2EEEES1Z_NST_IJLi1ELi1ELi1ELi2EEEES1X_S1Y_S1Z_S1Z_S20_S1Z_S21_NST_IJLi0ELi1ELi2ELi3ELi4ELi5EEEELi5ELi4EEEDF16_NS5_IJPKDF16_EEEDF16_S8_S8_S9_NSB_INS5_IJSE_SG_SI_SI_SG_SG_SK_SK_SG_SN_SN_SP_SP_SR_SG_SG_NSQ_INS5_IJiNS_17integral_constantIiLi128EEEEEELb0EEENSF_INS27_IiLi2EEEEEEEENS5_IJSU_SV_SW_SX_SY_SZ_S10_S11_S12_S13_S14_S15_S16_S17_S18_NST_IJLi19EEEES1G_NST_IJLi20EEEEEEENS5_IJS1A_SZ_S10_S11_S12_S1B_S1C_S1D_S1E_S15_S16_S18_S17_S1F_S1G_NST_IJLi22EEEENST_IJLi23ELi24EEEENST_IJLi25EEEEEEENST_IJLi22ELi23ELi24ELi25EEEElEENSB_INS5_IJSR_SP_SP_SR_SG_SG_S2A_S2C_EEENS5_IJSU_SV_SW_SY_SX_SZ_S11_S10_EEENS5_IJS1M_SX_SY_S1N_S11_S12_NST_IJLi9ELi10EEEENST_IJLi11EEEEEEENST_IJLi8ELi9ELi10ELi11EEEElEENS5_IJNSB_INS5_IJSK_SP_SP_NSQ_INS5_IJiS2B_NS27_IiLi64EEEEEELb0EEES2W_EEENS5_IJSU_SV_SW_SX_SY_EEENS5_IJS1M_SX_SY_NST_IJLi5ELi6ELi7EEEENST_IJLi8ELi9ELi10EEEEEEENST_IJLi5ELi6ELi7ELi8ELi9ELi10EEEElEEEEES33_NS_31BlockToCTileMap_M00_N00_M01_N01ILi128ELi128ES1V_Lb0EEENS1_30ComputePtrOffsetOfStridedBatchILi1ELi1ELi1EvEELb0ELb1EEEvPKT0_S3B_T1_PT2_T3_T4_T5_iT6_T7_T8_T9_T10_T11_
    .private_segment_fixed_size: 0
    .sgpr_count:     53
    .sgpr_spill_count: 0
    .symbol:         _ZN2ck16tensor_operation6device12_GLOBAL__N_137kernel_grouped_conv_fwd_dl_multiple_dINS_32GridwiseGemmDlMultipleD_km_kn_mnILi256EDF16_fNS_5TupleIJDF16_EEEDF16_NS0_12element_wise11PassThroughES8_NS7_7AddReluELNS_25InMemoryDataOperationEnumE0ENS_16TensorDescriptorINS5_IJNS_5EmbedINS5_IJiiiiEEESD_Lb0EEENS_11PassThroughIiEENS_3PadIiiiLb0EEESI_SG_SG_NSC_INS5_IJiiEEESJ_Lb0EEESK_SG_NS_23Merge_v2_magic_divisionINS5_IJiiiEEEEESN_NS_8RightPadIiiLb0EEESP_NS_7UnMergeISJ_Lb0EEESG_EEENS5_IJNS_8SequenceIJLi0EEEENST_IJLi1EEEENST_IJLi2EEEENST_IJLi3EEEENST_IJLi4EEEENST_IJLi5EEEENST_IJLi6EEEENST_IJLi7EEEENST_IJLi8EEEENST_IJLi9ELi11ELi13EEEENST_IJLi10ELi12ELi14EEEENST_IJLi15EEEENST_IJLi16EEEENST_IJLi18EEEENST_IJLi17EEEEEEENS5_IJNST_IJLi1ELi2ELi3ELi4EEEESZ_S10_S11_S12_NST_IJLi9EEEENST_IJLi10ELi11EEEENST_IJLi12ELi13EEEENST_IJLi14EEEES15_S16_S18_S17_NST_IJLi19ELi20EEEENST_IJLi21EEEEEEENST_IJLi19ELi21ELi20EEEElEENSB_INS5_IJSR_SP_SP_SR_SG_EEENS5_IJSU_SV_SW_SY_SX_EEENS5_IJNST_IJLi1ELi2EEEESX_SY_NST_IJLi5ELi6EEEES11_EEENST_IJLi5ELi7ELi6EEEElEENSB_INS5_IJSK_SP_SP_EEENS5_IJSU_SV_SW_EEENS5_IJS1M_SX_SY_EEENST_IJLi3ELi4EEEElEELi128ELi128ELi16ELi2ELi4ELi4ELi1ENST_IJLi8ELi2EEEES1W_NST_IJLi8ELi1ELi1ELi2EEEENST_IJLi2ELi1ELi128ELi1EEEENST_IJLi1ELi2ELi0ELi3EEEES1Z_NST_IJLi4ELi1ELi1ELi2EEEES1Z_NST_IJLi1ELi1ELi1ELi2EEEES1X_S1Y_S1Z_S1Z_S20_S1Z_S21_NST_IJLi0ELi1ELi2ELi3ELi4ELi5EEEELi5ELi4EEEDF16_NS5_IJPKDF16_EEEDF16_S8_S8_S9_NSB_INS5_IJSE_SG_SI_SI_SG_SG_SK_SK_SG_SN_SN_SP_SP_SR_SG_SG_NSQ_INS5_IJiNS_17integral_constantIiLi128EEEEEELb0EEENSF_INS27_IiLi2EEEEEEEENS5_IJSU_SV_SW_SX_SY_SZ_S10_S11_S12_S13_S14_S15_S16_S17_S18_NST_IJLi19EEEES1G_NST_IJLi20EEEEEEENS5_IJS1A_SZ_S10_S11_S12_S1B_S1C_S1D_S1E_S15_S16_S18_S17_S1F_S1G_NST_IJLi22EEEENST_IJLi23ELi24EEEENST_IJLi25EEEEEEENST_IJLi22ELi23ELi24ELi25EEEElEENSB_INS5_IJSR_SP_SP_SR_SG_SG_S2A_S2C_EEENS5_IJSU_SV_SW_SY_SX_SZ_S11_S10_EEENS5_IJS1M_SX_SY_S1N_S11_S12_NST_IJLi9ELi10EEEENST_IJLi11EEEEEEENST_IJLi8ELi9ELi10ELi11EEEElEENS5_IJNSB_INS5_IJSK_SP_SP_NSQ_INS5_IJiS2B_NS27_IiLi64EEEEEELb0EEES2W_EEENS5_IJSU_SV_SW_SX_SY_EEENS5_IJS1M_SX_SY_NST_IJLi5ELi6ELi7EEEENST_IJLi8ELi9ELi10EEEEEEENST_IJLi5ELi6ELi7ELi8ELi9ELi10EEEElEEEEES33_NS_31BlockToCTileMap_M00_N00_M01_N01ILi128ELi128ES1V_Lb0EEENS1_30ComputePtrOffsetOfStridedBatchILi1ELi1ELi1EvEELb0ELb1EEEvPKT0_S3B_T1_PT2_T3_T4_T5_iT6_T7_T8_T9_T10_T11_.kd
    .uniform_work_group_size: 1
    .uses_dynamic_stack: false
    .vgpr_count:     189
    .vgpr_spill_count: 0
    .wavefront_size: 32
    .workgroup_processor_mode: 1
  - .args:
      - .address_space:  global
        .offset:         0
        .size:           8
        .value_kind:     global_buffer
      - .address_space:  global
        .offset:         8
        .size:           8
        .value_kind:     global_buffer
      - .address_space:  global
        .offset:         16
        .size:           8
        .value_kind:     global_buffer
      - .address_space:  global
        .offset:         24
        .size:           8
        .value_kind:     global_buffer
      - .offset:         32
        .size:           1
        .value_kind:     by_value
      - .offset:         33
        .size:           1
        .value_kind:     by_value
      - .offset:         34
        .size:           1
        .value_kind:     by_value
      - .offset:         36
        .size:           4
        .value_kind:     by_value
      - .offset:         40
        .size:           264
        .value_kind:     by_value
      - .offset:         304
        .size:           96
        .value_kind:     by_value
      - .offset:         400
        .size:           80
        .value_kind:     by_value
      - .offset:         480
        .size:           80
        .value_kind:     by_value
      - .offset:         560
        .size:           112
        .value_kind:     by_value
      - .offset:         672
        .size:           40
        .value_kind:     by_value
      - .offset:         712
        .size:           4
        .value_kind:     hidden_block_count_x
      - .offset:         716
        .size:           4
        .value_kind:     hidden_block_count_y
      - .offset:         720
        .size:           4
        .value_kind:     hidden_block_count_z
      - .offset:         724
        .size:           2
        .value_kind:     hidden_group_size_x
      - .offset:         726
        .size:           2
        .value_kind:     hidden_group_size_y
      - .offset:         728
        .size:           2
        .value_kind:     hidden_group_size_z
      - .offset:         730
        .size:           2
        .value_kind:     hidden_remainder_x
      - .offset:         732
        .size:           2
        .value_kind:     hidden_remainder_y
      - .offset:         734
        .size:           2
        .value_kind:     hidden_remainder_z
      - .offset:         752
        .size:           8
        .value_kind:     hidden_global_offset_x
      - .offset:         760
        .size:           8
        .value_kind:     hidden_global_offset_y
      - .offset:         768
        .size:           8
        .value_kind:     hidden_global_offset_z
      - .offset:         776
        .size:           2
        .value_kind:     hidden_grid_dims
    .group_segment_fixed_size: 32768
    .kernarg_segment_align: 8
    .kernarg_segment_size: 968
    .language:       OpenCL C
    .language_version:
      - 2
      - 0
    .max_flat_workgroup_size: 256
    .name:           _ZN2ck16tensor_operation6device12_GLOBAL__N_137kernel_grouped_conv_fwd_dl_multiple_dINS_32GridwiseGemmDlMultipleD_km_kn_mnILi256EDF16_fNS_5TupleIJDF16_EEEDF16_NS0_12element_wise11PassThroughES8_NS7_7AddReluELNS_25InMemoryDataOperationEnumE0ENS_16TensorDescriptorINS5_IJNS_5EmbedINS5_IJiiiiEEESD_Lb0EEENS_11PassThroughIiEENS_3PadIiiiLb0EEESI_SG_SG_NSC_INS5_IJiiEEESJ_Lb0EEESK_SG_NS_23Merge_v2_magic_divisionINS5_IJiiiEEEEESN_NS_8RightPadIiiLb0EEESP_NS_7UnMergeISJ_Lb0EEESG_EEENS5_IJNS_8SequenceIJLi0EEEENST_IJLi1EEEENST_IJLi2EEEENST_IJLi3EEEENST_IJLi4EEEENST_IJLi5EEEENST_IJLi6EEEENST_IJLi7EEEENST_IJLi8EEEENST_IJLi9ELi11ELi13EEEENST_IJLi10ELi12ELi14EEEENST_IJLi15EEEENST_IJLi16EEEENST_IJLi18EEEENST_IJLi17EEEEEEENS5_IJNST_IJLi1ELi2ELi3ELi4EEEESZ_S10_S11_S12_NST_IJLi9EEEENST_IJLi10ELi11EEEENST_IJLi12ELi13EEEENST_IJLi14EEEES15_S16_S18_S17_NST_IJLi19ELi20EEEENST_IJLi21EEEEEEENST_IJLi19ELi21ELi20EEEElEENSB_INS5_IJSR_SP_SP_SR_SG_EEENS5_IJSU_SV_SW_SY_SX_EEENS5_IJNST_IJLi1ELi2EEEESX_SY_NST_IJLi5ELi6EEEES11_EEENST_IJLi5ELi7ELi6EEEElEENSB_INS5_IJSK_SP_SP_EEENS5_IJSU_SV_SW_EEENS5_IJS1M_SX_SY_EEENST_IJLi3ELi4EEEElEELi128ELi128ELi16ELi2ELi4ELi4ELi1ENST_IJLi8ELi2EEEES1W_NST_IJLi8ELi1ELi1ELi2EEEENST_IJLi2ELi1ELi128ELi1EEEENST_IJLi1ELi2ELi0ELi3EEEES1Z_NST_IJLi4ELi1ELi1ELi2EEEES1Z_NST_IJLi1ELi1ELi1ELi2EEEES1X_S1Y_S1Z_S1Z_S20_S1Z_S21_NST_IJLi0ELi1ELi2ELi3ELi4ELi5EEEELi5ELi4EEEDF16_NS5_IJPKDF16_EEEDF16_S8_S8_S9_NSB_INS5_IJSE_SG_SI_SI_SG_SG_SK_SK_SG_SN_SN_SP_SP_SR_SG_SG_NSQ_INS5_IJiNS_17integral_constantIiLi128EEEEEELb0EEENSF_INS27_IiLi2EEEEEEEENS5_IJSU_SV_SW_SX_SY_SZ_S10_S11_S12_S13_S14_S15_S16_S17_S18_NST_IJLi19EEEES1G_NST_IJLi20EEEEEEENS5_IJS1A_SZ_S10_S11_S12_S1B_S1C_S1D_S1E_S15_S16_S18_S17_S1F_S1G_NST_IJLi22EEEENST_IJLi23ELi24EEEENST_IJLi25EEEEEEENST_IJLi22ELi23ELi24ELi25EEEElEENSB_INS5_IJSR_SP_SP_SR_SG_SG_S2A_S2C_EEENS5_IJSU_SV_SW_SY_SX_SZ_S11_S10_EEENS5_IJS1M_SX_SY_S1N_S11_S12_NST_IJLi9ELi10EEEENST_IJLi11EEEEEEENST_IJLi8ELi9ELi10ELi11EEEElEENS5_IJNSB_INS5_IJSK_SP_SP_NSQ_INS5_IJiS2B_NS27_IiLi64EEEEEELb0EEES2W_EEENS5_IJSU_SV_SW_SX_SY_EEENS5_IJS1M_SX_SY_NST_IJLi5ELi6ELi7EEEENST_IJLi8ELi9ELi10EEEEEEENST_IJLi5ELi6ELi7ELi8ELi9ELi10EEEElEEEEES33_NS_31BlockToCTileMap_M00_N00_M01_N01ILi128ELi128ES1V_Lb0EEENS1_30ComputePtrOffsetOfStridedBatchILi1ELi1ELi1EvEELb0ELb0EEEvPKT0_S3B_T1_PT2_T3_T4_T5_iT6_T7_T8_T9_T10_T11_
    .private_segment_fixed_size: 0
    .sgpr_count:     60
    .sgpr_spill_count: 0
    .symbol:         _ZN2ck16tensor_operation6device12_GLOBAL__N_137kernel_grouped_conv_fwd_dl_multiple_dINS_32GridwiseGemmDlMultipleD_km_kn_mnILi256EDF16_fNS_5TupleIJDF16_EEEDF16_NS0_12element_wise11PassThroughES8_NS7_7AddReluELNS_25InMemoryDataOperationEnumE0ENS_16TensorDescriptorINS5_IJNS_5EmbedINS5_IJiiiiEEESD_Lb0EEENS_11PassThroughIiEENS_3PadIiiiLb0EEESI_SG_SG_NSC_INS5_IJiiEEESJ_Lb0EEESK_SG_NS_23Merge_v2_magic_divisionINS5_IJiiiEEEEESN_NS_8RightPadIiiLb0EEESP_NS_7UnMergeISJ_Lb0EEESG_EEENS5_IJNS_8SequenceIJLi0EEEENST_IJLi1EEEENST_IJLi2EEEENST_IJLi3EEEENST_IJLi4EEEENST_IJLi5EEEENST_IJLi6EEEENST_IJLi7EEEENST_IJLi8EEEENST_IJLi9ELi11ELi13EEEENST_IJLi10ELi12ELi14EEEENST_IJLi15EEEENST_IJLi16EEEENST_IJLi18EEEENST_IJLi17EEEEEEENS5_IJNST_IJLi1ELi2ELi3ELi4EEEESZ_S10_S11_S12_NST_IJLi9EEEENST_IJLi10ELi11EEEENST_IJLi12ELi13EEEENST_IJLi14EEEES15_S16_S18_S17_NST_IJLi19ELi20EEEENST_IJLi21EEEEEEENST_IJLi19ELi21ELi20EEEElEENSB_INS5_IJSR_SP_SP_SR_SG_EEENS5_IJSU_SV_SW_SY_SX_EEENS5_IJNST_IJLi1ELi2EEEESX_SY_NST_IJLi5ELi6EEEES11_EEENST_IJLi5ELi7ELi6EEEElEENSB_INS5_IJSK_SP_SP_EEENS5_IJSU_SV_SW_EEENS5_IJS1M_SX_SY_EEENST_IJLi3ELi4EEEElEELi128ELi128ELi16ELi2ELi4ELi4ELi1ENST_IJLi8ELi2EEEES1W_NST_IJLi8ELi1ELi1ELi2EEEENST_IJLi2ELi1ELi128ELi1EEEENST_IJLi1ELi2ELi0ELi3EEEES1Z_NST_IJLi4ELi1ELi1ELi2EEEES1Z_NST_IJLi1ELi1ELi1ELi2EEEES1X_S1Y_S1Z_S1Z_S20_S1Z_S21_NST_IJLi0ELi1ELi2ELi3ELi4ELi5EEEELi5ELi4EEEDF16_NS5_IJPKDF16_EEEDF16_S8_S8_S9_NSB_INS5_IJSE_SG_SI_SI_SG_SG_SK_SK_SG_SN_SN_SP_SP_SR_SG_SG_NSQ_INS5_IJiNS_17integral_constantIiLi128EEEEEELb0EEENSF_INS27_IiLi2EEEEEEEENS5_IJSU_SV_SW_SX_SY_SZ_S10_S11_S12_S13_S14_S15_S16_S17_S18_NST_IJLi19EEEES1G_NST_IJLi20EEEEEEENS5_IJS1A_SZ_S10_S11_S12_S1B_S1C_S1D_S1E_S15_S16_S18_S17_S1F_S1G_NST_IJLi22EEEENST_IJLi23ELi24EEEENST_IJLi25EEEEEEENST_IJLi22ELi23ELi24ELi25EEEElEENSB_INS5_IJSR_SP_SP_SR_SG_SG_S2A_S2C_EEENS5_IJSU_SV_SW_SY_SX_SZ_S11_S10_EEENS5_IJS1M_SX_SY_S1N_S11_S12_NST_IJLi9ELi10EEEENST_IJLi11EEEEEEENST_IJLi8ELi9ELi10ELi11EEEElEENS5_IJNSB_INS5_IJSK_SP_SP_NSQ_INS5_IJiS2B_NS27_IiLi64EEEEEELb0EEES2W_EEENS5_IJSU_SV_SW_SX_SY_EEENS5_IJS1M_SX_SY_NST_IJLi5ELi6ELi7EEEENST_IJLi8ELi9ELi10EEEEEEENST_IJLi5ELi6ELi7ELi8ELi9ELi10EEEElEEEEES33_NS_31BlockToCTileMap_M00_N00_M01_N01ILi128ELi128ES1V_Lb0EEENS1_30ComputePtrOffsetOfStridedBatchILi1ELi1ELi1EvEELb0ELb0EEEvPKT0_S3B_T1_PT2_T3_T4_T5_iT6_T7_T8_T9_T10_T11_.kd
    .uniform_work_group_size: 1
    .uses_dynamic_stack: false
    .vgpr_count:     136
    .vgpr_spill_count: 0
    .wavefront_size: 32
    .workgroup_processor_mode: 1
  - .args:
      - .address_space:  global
        .offset:         0
        .size:           8
        .value_kind:     global_buffer
      - .address_space:  global
        .offset:         8
        .size:           8
        .value_kind:     global_buffer
      - .address_space:  global
        .offset:         16
        .size:           8
        .value_kind:     global_buffer
      - .address_space:  global
        .offset:         24
        .size:           8
        .value_kind:     global_buffer
      - .offset:         32
        .size:           1
        .value_kind:     by_value
      - .offset:         33
        .size:           1
        .value_kind:     by_value
      - .offset:         34
        .size:           1
        .value_kind:     by_value
      - .offset:         36
        .size:           4
        .value_kind:     by_value
      - .offset:         40
        .size:           320
        .value_kind:     by_value
      - .offset:         360
        .size:           96
        .value_kind:     by_value
      - .offset:         456
        .size:           80
        .value_kind:     by_value
      - .offset:         536
        .size:           80
        .value_kind:     by_value
      - .offset:         616
        .size:           112
        .value_kind:     by_value
      - .offset:         728
        .size:           40
        .value_kind:     by_value
      - .offset:         768
        .size:           4
        .value_kind:     hidden_block_count_x
      - .offset:         772
        .size:           4
        .value_kind:     hidden_block_count_y
      - .offset:         776
        .size:           4
        .value_kind:     hidden_block_count_z
      - .offset:         780
        .size:           2
        .value_kind:     hidden_group_size_x
      - .offset:         782
        .size:           2
        .value_kind:     hidden_group_size_y
      - .offset:         784
        .size:           2
        .value_kind:     hidden_group_size_z
      - .offset:         786
        .size:           2
        .value_kind:     hidden_remainder_x
      - .offset:         788
        .size:           2
        .value_kind:     hidden_remainder_y
      - .offset:         790
        .size:           2
        .value_kind:     hidden_remainder_z
      - .offset:         808
        .size:           8
        .value_kind:     hidden_global_offset_x
      - .offset:         816
        .size:           8
        .value_kind:     hidden_global_offset_y
      - .offset:         824
        .size:           8
        .value_kind:     hidden_global_offset_z
      - .offset:         832
        .size:           2
        .value_kind:     hidden_grid_dims
    .group_segment_fixed_size: 32768
    .kernarg_segment_align: 8
    .kernarg_segment_size: 1024
    .language:       OpenCL C
    .language_version:
      - 2
      - 0
    .max_flat_workgroup_size: 256
    .name:           _ZN2ck16tensor_operation6device12_GLOBAL__N_137kernel_grouped_conv_fwd_dl_multiple_dINS_32GridwiseGemmDlMultipleD_km_kn_mnILi256EDF16_fNS_5TupleIJDF16_EEEDF16_NS0_12element_wise11PassThroughES8_NS7_7AddReluELNS_25InMemoryDataOperationEnumE0ENS_16TensorDescriptorINS5_IJNS_5EmbedINS5_IJiiiiiEEESD_Lb0EEENS_11PassThroughIiEENS_3PadIiiiLb0EEESI_SI_SG_SG_NSC_INS5_IJiiEEESJ_Lb0EEESK_SK_SG_NS_23Merge_v2_magic_divisionINS5_IJiiiiEEEEESN_NS_8RightPadIiiLb0EEESP_NS_7UnMergeISJ_Lb0EEESG_EEENS5_IJNS_8SequenceIJLi0EEEENST_IJLi1EEEENST_IJLi2EEEENST_IJLi3EEEENST_IJLi4EEEENST_IJLi5EEEENST_IJLi6EEEENST_IJLi7EEEENST_IJLi8EEEENST_IJLi9EEEENST_IJLi10EEEENST_IJLi11ELi13ELi15ELi17EEEENST_IJLi12ELi14ELi16ELi18EEEENST_IJLi19EEEENST_IJLi20EEEENST_IJLi22EEEENST_IJLi21EEEEEEENS5_IJNST_IJLi1ELi2ELi3ELi4ELi5EEEES10_S11_S12_S13_S14_NST_IJLi11EEEENST_IJLi12ELi13EEEENST_IJLi14ELi15EEEENST_IJLi16ELi17EEEENST_IJLi18EEEES17_S18_S1A_S19_NST_IJLi23ELi24EEEENST_IJLi25EEEEEEENST_IJLi23ELi25ELi24EEEElEENSB_INS5_IJSR_SP_SP_SR_SG_EEENS5_IJSU_SV_SW_SY_SX_EEENS5_IJNST_IJLi1ELi2EEEESX_SY_NST_IJLi5ELi6EEEES11_EEENST_IJLi5ELi7ELi6EEEElEENSB_INS5_IJSK_SP_SP_EEENS5_IJSU_SV_SW_EEENS5_IJS1P_SX_SY_EEENST_IJLi3ELi4EEEElEELi128ELi128ELi16ELi2ELi4ELi4ELi1ENST_IJLi8ELi2EEEES1Z_NST_IJLi8ELi1ELi1ELi2EEEENST_IJLi2ELi1ELi128ELi1EEEENST_IJLi1ELi2ELi0ELi3EEEES22_NST_IJLi4ELi1ELi1ELi2EEEES22_NST_IJLi1ELi1ELi1ELi2EEEES20_S21_S22_S22_S23_S22_S24_NST_IJLi0ELi1ELi2ELi3ELi4ELi5EEEELi5ELi4EEEDF16_NS5_IJPKDF16_EEEDF16_S8_S8_S9_NSB_INS5_IJSE_SG_SI_SI_SI_SG_SG_SK_SK_SK_SG_SN_SN_SP_SP_SR_SG_SG_NSQ_INS5_IJiNS_17integral_constantIiLi128EEEEEELb0EEENSF_INS2A_IiLi2EEEEEEEENS5_IJSU_SV_SW_SX_SY_SZ_S10_S11_S12_S13_S14_S15_S16_S17_S18_S19_S1A_NST_IJLi23EEEES1J_NST_IJLi24EEEEEEENS5_IJS1C_S10_S11_S12_S13_S14_S1D_S1E_S1F_S1G_S1H_S17_S18_S1A_S19_S1I_S1J_NST_IJLi26EEEENST_IJLi27ELi28EEEENST_IJLi29EEEEEEENST_IJLi26ELi27ELi28ELi29EEEElEENSB_INS5_IJSR_SP_SP_SR_SG_SG_S2D_S2F_EEENS5_IJSU_SV_SW_SY_SX_SZ_S11_S10_EEENS5_IJS1P_SX_SY_S1Q_S11_S12_NST_IJLi9ELi10EEEES1D_EEENST_IJLi8ELi9ELi10ELi11EEEElEENS5_IJNSB_INS5_IJSK_SP_SP_NSQ_INS5_IJiS2E_NS2A_IiLi64EEEEEELb0EEES2Y_EEENS5_IJSU_SV_SW_SX_SY_EEENS5_IJS1P_SX_SY_NST_IJLi5ELi6ELi7EEEENST_IJLi8ELi9ELi10EEEEEEENST_IJLi5ELi6ELi7ELi8ELi9ELi10EEEElEEEEES35_NS_31BlockToCTileMap_M00_N00_M01_N01ILi128ELi128ES1Y_Lb0EEENS1_30ComputePtrOffsetOfStridedBatchILi1ELi1ELi1EvEELb1ELb1EEEvPKT0_S3D_T1_PT2_T3_T4_T5_iT6_T7_T8_T9_T10_T11_
    .private_segment_fixed_size: 0
    .sgpr_count:     81
    .sgpr_spill_count: 0
    .symbol:         _ZN2ck16tensor_operation6device12_GLOBAL__N_137kernel_grouped_conv_fwd_dl_multiple_dINS_32GridwiseGemmDlMultipleD_km_kn_mnILi256EDF16_fNS_5TupleIJDF16_EEEDF16_NS0_12element_wise11PassThroughES8_NS7_7AddReluELNS_25InMemoryDataOperationEnumE0ENS_16TensorDescriptorINS5_IJNS_5EmbedINS5_IJiiiiiEEESD_Lb0EEENS_11PassThroughIiEENS_3PadIiiiLb0EEESI_SI_SG_SG_NSC_INS5_IJiiEEESJ_Lb0EEESK_SK_SG_NS_23Merge_v2_magic_divisionINS5_IJiiiiEEEEESN_NS_8RightPadIiiLb0EEESP_NS_7UnMergeISJ_Lb0EEESG_EEENS5_IJNS_8SequenceIJLi0EEEENST_IJLi1EEEENST_IJLi2EEEENST_IJLi3EEEENST_IJLi4EEEENST_IJLi5EEEENST_IJLi6EEEENST_IJLi7EEEENST_IJLi8EEEENST_IJLi9EEEENST_IJLi10EEEENST_IJLi11ELi13ELi15ELi17EEEENST_IJLi12ELi14ELi16ELi18EEEENST_IJLi19EEEENST_IJLi20EEEENST_IJLi22EEEENST_IJLi21EEEEEEENS5_IJNST_IJLi1ELi2ELi3ELi4ELi5EEEES10_S11_S12_S13_S14_NST_IJLi11EEEENST_IJLi12ELi13EEEENST_IJLi14ELi15EEEENST_IJLi16ELi17EEEENST_IJLi18EEEES17_S18_S1A_S19_NST_IJLi23ELi24EEEENST_IJLi25EEEEEEENST_IJLi23ELi25ELi24EEEElEENSB_INS5_IJSR_SP_SP_SR_SG_EEENS5_IJSU_SV_SW_SY_SX_EEENS5_IJNST_IJLi1ELi2EEEESX_SY_NST_IJLi5ELi6EEEES11_EEENST_IJLi5ELi7ELi6EEEElEENSB_INS5_IJSK_SP_SP_EEENS5_IJSU_SV_SW_EEENS5_IJS1P_SX_SY_EEENST_IJLi3ELi4EEEElEELi128ELi128ELi16ELi2ELi4ELi4ELi1ENST_IJLi8ELi2EEEES1Z_NST_IJLi8ELi1ELi1ELi2EEEENST_IJLi2ELi1ELi128ELi1EEEENST_IJLi1ELi2ELi0ELi3EEEES22_NST_IJLi4ELi1ELi1ELi2EEEES22_NST_IJLi1ELi1ELi1ELi2EEEES20_S21_S22_S22_S23_S22_S24_NST_IJLi0ELi1ELi2ELi3ELi4ELi5EEEELi5ELi4EEEDF16_NS5_IJPKDF16_EEEDF16_S8_S8_S9_NSB_INS5_IJSE_SG_SI_SI_SI_SG_SG_SK_SK_SK_SG_SN_SN_SP_SP_SR_SG_SG_NSQ_INS5_IJiNS_17integral_constantIiLi128EEEEEELb0EEENSF_INS2A_IiLi2EEEEEEEENS5_IJSU_SV_SW_SX_SY_SZ_S10_S11_S12_S13_S14_S15_S16_S17_S18_S19_S1A_NST_IJLi23EEEES1J_NST_IJLi24EEEEEEENS5_IJS1C_S10_S11_S12_S13_S14_S1D_S1E_S1F_S1G_S1H_S17_S18_S1A_S19_S1I_S1J_NST_IJLi26EEEENST_IJLi27ELi28EEEENST_IJLi29EEEEEEENST_IJLi26ELi27ELi28ELi29EEEElEENSB_INS5_IJSR_SP_SP_SR_SG_SG_S2D_S2F_EEENS5_IJSU_SV_SW_SY_SX_SZ_S11_S10_EEENS5_IJS1P_SX_SY_S1Q_S11_S12_NST_IJLi9ELi10EEEES1D_EEENST_IJLi8ELi9ELi10ELi11EEEElEENS5_IJNSB_INS5_IJSK_SP_SP_NSQ_INS5_IJiS2E_NS2A_IiLi64EEEEEELb0EEES2Y_EEENS5_IJSU_SV_SW_SX_SY_EEENS5_IJS1P_SX_SY_NST_IJLi5ELi6ELi7EEEENST_IJLi8ELi9ELi10EEEEEEENST_IJLi5ELi6ELi7ELi8ELi9ELi10EEEElEEEEES35_NS_31BlockToCTileMap_M00_N00_M01_N01ILi128ELi128ES1Y_Lb0EEENS1_30ComputePtrOffsetOfStridedBatchILi1ELi1ELi1EvEELb1ELb1EEEvPKT0_S3D_T1_PT2_T3_T4_T5_iT6_T7_T8_T9_T10_T11_.kd
    .uniform_work_group_size: 1
    .uses_dynamic_stack: false
    .vgpr_count:     180
    .vgpr_spill_count: 0
    .wavefront_size: 32
    .workgroup_processor_mode: 1
  - .args:
      - .address_space:  global
        .offset:         0
        .size:           8
        .value_kind:     global_buffer
      - .address_space:  global
        .offset:         8
        .size:           8
        .value_kind:     global_buffer
      - .address_space:  global
        .offset:         16
        .size:           8
        .value_kind:     global_buffer
      - .address_space:  global
        .offset:         24
        .size:           8
        .value_kind:     global_buffer
      - .offset:         32
        .size:           1
        .value_kind:     by_value
      - .offset:         33
        .size:           1
        .value_kind:     by_value
      - .offset:         34
        .size:           1
        .value_kind:     by_value
      - .offset:         36
        .size:           4
        .value_kind:     by_value
      - .offset:         40
        .size:           320
        .value_kind:     by_value
      - .offset:         360
        .size:           96
        .value_kind:     by_value
      - .offset:         456
        .size:           80
        .value_kind:     by_value
      - .offset:         536
        .size:           80
        .value_kind:     by_value
      - .offset:         616
        .size:           112
        .value_kind:     by_value
      - .offset:         728
        .size:           40
        .value_kind:     by_value
      - .offset:         768
        .size:           4
        .value_kind:     hidden_block_count_x
      - .offset:         772
        .size:           4
        .value_kind:     hidden_block_count_y
      - .offset:         776
        .size:           4
        .value_kind:     hidden_block_count_z
      - .offset:         780
        .size:           2
        .value_kind:     hidden_group_size_x
      - .offset:         782
        .size:           2
        .value_kind:     hidden_group_size_y
      - .offset:         784
        .size:           2
        .value_kind:     hidden_group_size_z
      - .offset:         786
        .size:           2
        .value_kind:     hidden_remainder_x
      - .offset:         788
        .size:           2
        .value_kind:     hidden_remainder_y
      - .offset:         790
        .size:           2
        .value_kind:     hidden_remainder_z
      - .offset:         808
        .size:           8
        .value_kind:     hidden_global_offset_x
      - .offset:         816
        .size:           8
        .value_kind:     hidden_global_offset_y
      - .offset:         824
        .size:           8
        .value_kind:     hidden_global_offset_z
      - .offset:         832
        .size:           2
        .value_kind:     hidden_grid_dims
    .group_segment_fixed_size: 32768
    .kernarg_segment_align: 8
    .kernarg_segment_size: 1024
    .language:       OpenCL C
    .language_version:
      - 2
      - 0
    .max_flat_workgroup_size: 256
    .name:           _ZN2ck16tensor_operation6device12_GLOBAL__N_137kernel_grouped_conv_fwd_dl_multiple_dINS_32GridwiseGemmDlMultipleD_km_kn_mnILi256EDF16_fNS_5TupleIJDF16_EEEDF16_NS0_12element_wise11PassThroughES8_NS7_7AddReluELNS_25InMemoryDataOperationEnumE0ENS_16TensorDescriptorINS5_IJNS_5EmbedINS5_IJiiiiiEEESD_Lb0EEENS_11PassThroughIiEENS_3PadIiiiLb0EEESI_SI_SG_SG_NSC_INS5_IJiiEEESJ_Lb0EEESK_SK_SG_NS_23Merge_v2_magic_divisionINS5_IJiiiiEEEEESN_NS_8RightPadIiiLb0EEESP_NS_7UnMergeISJ_Lb0EEESG_EEENS5_IJNS_8SequenceIJLi0EEEENST_IJLi1EEEENST_IJLi2EEEENST_IJLi3EEEENST_IJLi4EEEENST_IJLi5EEEENST_IJLi6EEEENST_IJLi7EEEENST_IJLi8EEEENST_IJLi9EEEENST_IJLi10EEEENST_IJLi11ELi13ELi15ELi17EEEENST_IJLi12ELi14ELi16ELi18EEEENST_IJLi19EEEENST_IJLi20EEEENST_IJLi22EEEENST_IJLi21EEEEEEENS5_IJNST_IJLi1ELi2ELi3ELi4ELi5EEEES10_S11_S12_S13_S14_NST_IJLi11EEEENST_IJLi12ELi13EEEENST_IJLi14ELi15EEEENST_IJLi16ELi17EEEENST_IJLi18EEEES17_S18_S1A_S19_NST_IJLi23ELi24EEEENST_IJLi25EEEEEEENST_IJLi23ELi25ELi24EEEElEENSB_INS5_IJSR_SP_SP_SR_SG_EEENS5_IJSU_SV_SW_SY_SX_EEENS5_IJNST_IJLi1ELi2EEEESX_SY_NST_IJLi5ELi6EEEES11_EEENST_IJLi5ELi7ELi6EEEElEENSB_INS5_IJSK_SP_SP_EEENS5_IJSU_SV_SW_EEENS5_IJS1P_SX_SY_EEENST_IJLi3ELi4EEEElEELi128ELi128ELi16ELi2ELi4ELi4ELi1ENST_IJLi8ELi2EEEES1Z_NST_IJLi8ELi1ELi1ELi2EEEENST_IJLi2ELi1ELi128ELi1EEEENST_IJLi1ELi2ELi0ELi3EEEES22_NST_IJLi4ELi1ELi1ELi2EEEES22_NST_IJLi1ELi1ELi1ELi2EEEES20_S21_S22_S22_S23_S22_S24_NST_IJLi0ELi1ELi2ELi3ELi4ELi5EEEELi5ELi4EEEDF16_NS5_IJPKDF16_EEEDF16_S8_S8_S9_NSB_INS5_IJSE_SG_SI_SI_SI_SG_SG_SK_SK_SK_SG_SN_SN_SP_SP_SR_SG_SG_NSQ_INS5_IJiNS_17integral_constantIiLi128EEEEEELb0EEENSF_INS2A_IiLi2EEEEEEEENS5_IJSU_SV_SW_SX_SY_SZ_S10_S11_S12_S13_S14_S15_S16_S17_S18_S19_S1A_NST_IJLi23EEEES1J_NST_IJLi24EEEEEEENS5_IJS1C_S10_S11_S12_S13_S14_S1D_S1E_S1F_S1G_S1H_S17_S18_S1A_S19_S1I_S1J_NST_IJLi26EEEENST_IJLi27ELi28EEEENST_IJLi29EEEEEEENST_IJLi26ELi27ELi28ELi29EEEElEENSB_INS5_IJSR_SP_SP_SR_SG_SG_S2D_S2F_EEENS5_IJSU_SV_SW_SY_SX_SZ_S11_S10_EEENS5_IJS1P_SX_SY_S1Q_S11_S12_NST_IJLi9ELi10EEEES1D_EEENST_IJLi8ELi9ELi10ELi11EEEElEENS5_IJNSB_INS5_IJSK_SP_SP_NSQ_INS5_IJiS2E_NS2A_IiLi64EEEEEELb0EEES2Y_EEENS5_IJSU_SV_SW_SX_SY_EEENS5_IJS1P_SX_SY_NST_IJLi5ELi6ELi7EEEENST_IJLi8ELi9ELi10EEEEEEENST_IJLi5ELi6ELi7ELi8ELi9ELi10EEEElEEEEES35_NS_31BlockToCTileMap_M00_N00_M01_N01ILi128ELi128ES1Y_Lb0EEENS1_30ComputePtrOffsetOfStridedBatchILi1ELi1ELi1EvEELb1ELb0EEEvPKT0_S3D_T1_PT2_T3_T4_T5_iT6_T7_T8_T9_T10_T11_
    .private_segment_fixed_size: 0
    .sgpr_count:     78
    .sgpr_spill_count: 0
    .symbol:         _ZN2ck16tensor_operation6device12_GLOBAL__N_137kernel_grouped_conv_fwd_dl_multiple_dINS_32GridwiseGemmDlMultipleD_km_kn_mnILi256EDF16_fNS_5TupleIJDF16_EEEDF16_NS0_12element_wise11PassThroughES8_NS7_7AddReluELNS_25InMemoryDataOperationEnumE0ENS_16TensorDescriptorINS5_IJNS_5EmbedINS5_IJiiiiiEEESD_Lb0EEENS_11PassThroughIiEENS_3PadIiiiLb0EEESI_SI_SG_SG_NSC_INS5_IJiiEEESJ_Lb0EEESK_SK_SG_NS_23Merge_v2_magic_divisionINS5_IJiiiiEEEEESN_NS_8RightPadIiiLb0EEESP_NS_7UnMergeISJ_Lb0EEESG_EEENS5_IJNS_8SequenceIJLi0EEEENST_IJLi1EEEENST_IJLi2EEEENST_IJLi3EEEENST_IJLi4EEEENST_IJLi5EEEENST_IJLi6EEEENST_IJLi7EEEENST_IJLi8EEEENST_IJLi9EEEENST_IJLi10EEEENST_IJLi11ELi13ELi15ELi17EEEENST_IJLi12ELi14ELi16ELi18EEEENST_IJLi19EEEENST_IJLi20EEEENST_IJLi22EEEENST_IJLi21EEEEEEENS5_IJNST_IJLi1ELi2ELi3ELi4ELi5EEEES10_S11_S12_S13_S14_NST_IJLi11EEEENST_IJLi12ELi13EEEENST_IJLi14ELi15EEEENST_IJLi16ELi17EEEENST_IJLi18EEEES17_S18_S1A_S19_NST_IJLi23ELi24EEEENST_IJLi25EEEEEEENST_IJLi23ELi25ELi24EEEElEENSB_INS5_IJSR_SP_SP_SR_SG_EEENS5_IJSU_SV_SW_SY_SX_EEENS5_IJNST_IJLi1ELi2EEEESX_SY_NST_IJLi5ELi6EEEES11_EEENST_IJLi5ELi7ELi6EEEElEENSB_INS5_IJSK_SP_SP_EEENS5_IJSU_SV_SW_EEENS5_IJS1P_SX_SY_EEENST_IJLi3ELi4EEEElEELi128ELi128ELi16ELi2ELi4ELi4ELi1ENST_IJLi8ELi2EEEES1Z_NST_IJLi8ELi1ELi1ELi2EEEENST_IJLi2ELi1ELi128ELi1EEEENST_IJLi1ELi2ELi0ELi3EEEES22_NST_IJLi4ELi1ELi1ELi2EEEES22_NST_IJLi1ELi1ELi1ELi2EEEES20_S21_S22_S22_S23_S22_S24_NST_IJLi0ELi1ELi2ELi3ELi4ELi5EEEELi5ELi4EEEDF16_NS5_IJPKDF16_EEEDF16_S8_S8_S9_NSB_INS5_IJSE_SG_SI_SI_SI_SG_SG_SK_SK_SK_SG_SN_SN_SP_SP_SR_SG_SG_NSQ_INS5_IJiNS_17integral_constantIiLi128EEEEEELb0EEENSF_INS2A_IiLi2EEEEEEEENS5_IJSU_SV_SW_SX_SY_SZ_S10_S11_S12_S13_S14_S15_S16_S17_S18_S19_S1A_NST_IJLi23EEEES1J_NST_IJLi24EEEEEEENS5_IJS1C_S10_S11_S12_S13_S14_S1D_S1E_S1F_S1G_S1H_S17_S18_S1A_S19_S1I_S1J_NST_IJLi26EEEENST_IJLi27ELi28EEEENST_IJLi29EEEEEEENST_IJLi26ELi27ELi28ELi29EEEElEENSB_INS5_IJSR_SP_SP_SR_SG_SG_S2D_S2F_EEENS5_IJSU_SV_SW_SY_SX_SZ_S11_S10_EEENS5_IJS1P_SX_SY_S1Q_S11_S12_NST_IJLi9ELi10EEEES1D_EEENST_IJLi8ELi9ELi10ELi11EEEElEENS5_IJNSB_INS5_IJSK_SP_SP_NSQ_INS5_IJiS2E_NS2A_IiLi64EEEEEELb0EEES2Y_EEENS5_IJSU_SV_SW_SX_SY_EEENS5_IJS1P_SX_SY_NST_IJLi5ELi6ELi7EEEENST_IJLi8ELi9ELi10EEEEEEENST_IJLi5ELi6ELi7ELi8ELi9ELi10EEEElEEEEES35_NS_31BlockToCTileMap_M00_N00_M01_N01ILi128ELi128ES1Y_Lb0EEENS1_30ComputePtrOffsetOfStridedBatchILi1ELi1ELi1EvEELb1ELb0EEEvPKT0_S3D_T1_PT2_T3_T4_T5_iT6_T7_T8_T9_T10_T11_.kd
    .uniform_work_group_size: 1
    .uses_dynamic_stack: false
    .vgpr_count:     132
    .vgpr_spill_count: 0
    .wavefront_size: 32
    .workgroup_processor_mode: 1
  - .args:
      - .address_space:  global
        .offset:         0
        .size:           8
        .value_kind:     global_buffer
      - .address_space:  global
        .offset:         8
        .size:           8
        .value_kind:     global_buffer
      - .address_space:  global
        .offset:         16
        .size:           8
        .value_kind:     global_buffer
      - .address_space:  global
        .offset:         24
        .size:           8
        .value_kind:     global_buffer
      - .offset:         32
        .size:           1
        .value_kind:     by_value
      - .offset:         33
        .size:           1
        .value_kind:     by_value
      - .offset:         34
        .size:           1
        .value_kind:     by_value
      - .offset:         36
        .size:           4
        .value_kind:     by_value
      - .offset:         40
        .size:           320
        .value_kind:     by_value
      - .offset:         360
        .size:           96
        .value_kind:     by_value
      - .offset:         456
        .size:           80
        .value_kind:     by_value
      - .offset:         536
        .size:           80
        .value_kind:     by_value
      - .offset:         616
        .size:           112
        .value_kind:     by_value
      - .offset:         728
        .size:           40
        .value_kind:     by_value
      - .offset:         768
        .size:           4
        .value_kind:     hidden_block_count_x
      - .offset:         772
        .size:           4
        .value_kind:     hidden_block_count_y
      - .offset:         776
        .size:           4
        .value_kind:     hidden_block_count_z
      - .offset:         780
        .size:           2
        .value_kind:     hidden_group_size_x
      - .offset:         782
        .size:           2
        .value_kind:     hidden_group_size_y
      - .offset:         784
        .size:           2
        .value_kind:     hidden_group_size_z
      - .offset:         786
        .size:           2
        .value_kind:     hidden_remainder_x
      - .offset:         788
        .size:           2
        .value_kind:     hidden_remainder_y
      - .offset:         790
        .size:           2
        .value_kind:     hidden_remainder_z
      - .offset:         808
        .size:           8
        .value_kind:     hidden_global_offset_x
      - .offset:         816
        .size:           8
        .value_kind:     hidden_global_offset_y
      - .offset:         824
        .size:           8
        .value_kind:     hidden_global_offset_z
      - .offset:         832
        .size:           2
        .value_kind:     hidden_grid_dims
    .group_segment_fixed_size: 32768
    .kernarg_segment_align: 8
    .kernarg_segment_size: 1024
    .language:       OpenCL C
    .language_version:
      - 2
      - 0
    .max_flat_workgroup_size: 256
    .name:           _ZN2ck16tensor_operation6device12_GLOBAL__N_137kernel_grouped_conv_fwd_dl_multiple_dINS_32GridwiseGemmDlMultipleD_km_kn_mnILi256EDF16_fNS_5TupleIJDF16_EEEDF16_NS0_12element_wise11PassThroughES8_NS7_7AddReluELNS_25InMemoryDataOperationEnumE0ENS_16TensorDescriptorINS5_IJNS_5EmbedINS5_IJiiiiiEEESD_Lb0EEENS_11PassThroughIiEENS_3PadIiiiLb0EEESI_SI_SG_SG_NSC_INS5_IJiiEEESJ_Lb0EEESK_SK_SG_NS_23Merge_v2_magic_divisionINS5_IJiiiiEEEEESN_NS_8RightPadIiiLb0EEESP_NS_7UnMergeISJ_Lb0EEESG_EEENS5_IJNS_8SequenceIJLi0EEEENST_IJLi1EEEENST_IJLi2EEEENST_IJLi3EEEENST_IJLi4EEEENST_IJLi5EEEENST_IJLi6EEEENST_IJLi7EEEENST_IJLi8EEEENST_IJLi9EEEENST_IJLi10EEEENST_IJLi11ELi13ELi15ELi17EEEENST_IJLi12ELi14ELi16ELi18EEEENST_IJLi19EEEENST_IJLi20EEEENST_IJLi22EEEENST_IJLi21EEEEEEENS5_IJNST_IJLi1ELi2ELi3ELi4ELi5EEEES10_S11_S12_S13_S14_NST_IJLi11EEEENST_IJLi12ELi13EEEENST_IJLi14ELi15EEEENST_IJLi16ELi17EEEENST_IJLi18EEEES17_S18_S1A_S19_NST_IJLi23ELi24EEEENST_IJLi25EEEEEEENST_IJLi23ELi25ELi24EEEElEENSB_INS5_IJSR_SP_SP_SR_SG_EEENS5_IJSU_SV_SW_SY_SX_EEENS5_IJNST_IJLi1ELi2EEEESX_SY_NST_IJLi5ELi6EEEES11_EEENST_IJLi5ELi7ELi6EEEElEENSB_INS5_IJSK_SP_SP_EEENS5_IJSU_SV_SW_EEENS5_IJS1P_SX_SY_EEENST_IJLi3ELi4EEEElEELi128ELi128ELi16ELi2ELi4ELi4ELi1ENST_IJLi8ELi2EEEES1Z_NST_IJLi8ELi1ELi1ELi2EEEENST_IJLi2ELi1ELi128ELi1EEEENST_IJLi1ELi2ELi0ELi3EEEES22_NST_IJLi4ELi1ELi1ELi2EEEES22_NST_IJLi1ELi1ELi1ELi2EEEES20_S21_S22_S22_S23_S22_S24_NST_IJLi0ELi1ELi2ELi3ELi4ELi5EEEELi5ELi4EEEDF16_NS5_IJPKDF16_EEEDF16_S8_S8_S9_NSB_INS5_IJSE_SG_SI_SI_SI_SG_SG_SK_SK_SK_SG_SN_SN_SP_SP_SR_SG_SG_NSQ_INS5_IJiNS_17integral_constantIiLi128EEEEEELb0EEENSF_INS2A_IiLi2EEEEEEEENS5_IJSU_SV_SW_SX_SY_SZ_S10_S11_S12_S13_S14_S15_S16_S17_S18_S19_S1A_NST_IJLi23EEEES1J_NST_IJLi24EEEEEEENS5_IJS1C_S10_S11_S12_S13_S14_S1D_S1E_S1F_S1G_S1H_S17_S18_S1A_S19_S1I_S1J_NST_IJLi26EEEENST_IJLi27ELi28EEEENST_IJLi29EEEEEEENST_IJLi26ELi27ELi28ELi29EEEElEENSB_INS5_IJSR_SP_SP_SR_SG_SG_S2D_S2F_EEENS5_IJSU_SV_SW_SY_SX_SZ_S11_S10_EEENS5_IJS1P_SX_SY_S1Q_S11_S12_NST_IJLi9ELi10EEEES1D_EEENST_IJLi8ELi9ELi10ELi11EEEElEENS5_IJNSB_INS5_IJSK_SP_SP_NSQ_INS5_IJiS2E_NS2A_IiLi64EEEEEELb0EEES2Y_EEENS5_IJSU_SV_SW_SX_SY_EEENS5_IJS1P_SX_SY_NST_IJLi5ELi6ELi7EEEENST_IJLi8ELi9ELi10EEEEEEENST_IJLi5ELi6ELi7ELi8ELi9ELi10EEEElEEEEES35_NS_31BlockToCTileMap_M00_N00_M01_N01ILi128ELi128ES1Y_Lb0EEENS1_30ComputePtrOffsetOfStridedBatchILi1ELi1ELi1EvEELb0ELb1EEEvPKT0_S3D_T1_PT2_T3_T4_T5_iT6_T7_T8_T9_T10_T11_
    .private_segment_fixed_size: 0
    .sgpr_count:     75
    .sgpr_spill_count: 0
    .symbol:         _ZN2ck16tensor_operation6device12_GLOBAL__N_137kernel_grouped_conv_fwd_dl_multiple_dINS_32GridwiseGemmDlMultipleD_km_kn_mnILi256EDF16_fNS_5TupleIJDF16_EEEDF16_NS0_12element_wise11PassThroughES8_NS7_7AddReluELNS_25InMemoryDataOperationEnumE0ENS_16TensorDescriptorINS5_IJNS_5EmbedINS5_IJiiiiiEEESD_Lb0EEENS_11PassThroughIiEENS_3PadIiiiLb0EEESI_SI_SG_SG_NSC_INS5_IJiiEEESJ_Lb0EEESK_SK_SG_NS_23Merge_v2_magic_divisionINS5_IJiiiiEEEEESN_NS_8RightPadIiiLb0EEESP_NS_7UnMergeISJ_Lb0EEESG_EEENS5_IJNS_8SequenceIJLi0EEEENST_IJLi1EEEENST_IJLi2EEEENST_IJLi3EEEENST_IJLi4EEEENST_IJLi5EEEENST_IJLi6EEEENST_IJLi7EEEENST_IJLi8EEEENST_IJLi9EEEENST_IJLi10EEEENST_IJLi11ELi13ELi15ELi17EEEENST_IJLi12ELi14ELi16ELi18EEEENST_IJLi19EEEENST_IJLi20EEEENST_IJLi22EEEENST_IJLi21EEEEEEENS5_IJNST_IJLi1ELi2ELi3ELi4ELi5EEEES10_S11_S12_S13_S14_NST_IJLi11EEEENST_IJLi12ELi13EEEENST_IJLi14ELi15EEEENST_IJLi16ELi17EEEENST_IJLi18EEEES17_S18_S1A_S19_NST_IJLi23ELi24EEEENST_IJLi25EEEEEEENST_IJLi23ELi25ELi24EEEElEENSB_INS5_IJSR_SP_SP_SR_SG_EEENS5_IJSU_SV_SW_SY_SX_EEENS5_IJNST_IJLi1ELi2EEEESX_SY_NST_IJLi5ELi6EEEES11_EEENST_IJLi5ELi7ELi6EEEElEENSB_INS5_IJSK_SP_SP_EEENS5_IJSU_SV_SW_EEENS5_IJS1P_SX_SY_EEENST_IJLi3ELi4EEEElEELi128ELi128ELi16ELi2ELi4ELi4ELi1ENST_IJLi8ELi2EEEES1Z_NST_IJLi8ELi1ELi1ELi2EEEENST_IJLi2ELi1ELi128ELi1EEEENST_IJLi1ELi2ELi0ELi3EEEES22_NST_IJLi4ELi1ELi1ELi2EEEES22_NST_IJLi1ELi1ELi1ELi2EEEES20_S21_S22_S22_S23_S22_S24_NST_IJLi0ELi1ELi2ELi3ELi4ELi5EEEELi5ELi4EEEDF16_NS5_IJPKDF16_EEEDF16_S8_S8_S9_NSB_INS5_IJSE_SG_SI_SI_SI_SG_SG_SK_SK_SK_SG_SN_SN_SP_SP_SR_SG_SG_NSQ_INS5_IJiNS_17integral_constantIiLi128EEEEEELb0EEENSF_INS2A_IiLi2EEEEEEEENS5_IJSU_SV_SW_SX_SY_SZ_S10_S11_S12_S13_S14_S15_S16_S17_S18_S19_S1A_NST_IJLi23EEEES1J_NST_IJLi24EEEEEEENS5_IJS1C_S10_S11_S12_S13_S14_S1D_S1E_S1F_S1G_S1H_S17_S18_S1A_S19_S1I_S1J_NST_IJLi26EEEENST_IJLi27ELi28EEEENST_IJLi29EEEEEEENST_IJLi26ELi27ELi28ELi29EEEElEENSB_INS5_IJSR_SP_SP_SR_SG_SG_S2D_S2F_EEENS5_IJSU_SV_SW_SY_SX_SZ_S11_S10_EEENS5_IJS1P_SX_SY_S1Q_S11_S12_NST_IJLi9ELi10EEEES1D_EEENST_IJLi8ELi9ELi10ELi11EEEElEENS5_IJNSB_INS5_IJSK_SP_SP_NSQ_INS5_IJiS2E_NS2A_IiLi64EEEEEELb0EEES2Y_EEENS5_IJSU_SV_SW_SX_SY_EEENS5_IJS1P_SX_SY_NST_IJLi5ELi6ELi7EEEENST_IJLi8ELi9ELi10EEEEEEENST_IJLi5ELi6ELi7ELi8ELi9ELi10EEEElEEEEES35_NS_31BlockToCTileMap_M00_N00_M01_N01ILi128ELi128ES1Y_Lb0EEENS1_30ComputePtrOffsetOfStridedBatchILi1ELi1ELi1EvEELb0ELb1EEEvPKT0_S3D_T1_PT2_T3_T4_T5_iT6_T7_T8_T9_T10_T11_.kd
    .uniform_work_group_size: 1
    .uses_dynamic_stack: false
    .vgpr_count:     189
    .vgpr_spill_count: 0
    .wavefront_size: 32
    .workgroup_processor_mode: 1
  - .args:
      - .address_space:  global
        .offset:         0
        .size:           8
        .value_kind:     global_buffer
      - .address_space:  global
        .offset:         8
        .size:           8
        .value_kind:     global_buffer
      - .address_space:  global
        .offset:         16
        .size:           8
        .value_kind:     global_buffer
      - .address_space:  global
        .offset:         24
        .size:           8
        .value_kind:     global_buffer
      - .offset:         32
        .size:           1
        .value_kind:     by_value
      - .offset:         33
        .size:           1
        .value_kind:     by_value
      - .offset:         34
        .size:           1
        .value_kind:     by_value
      - .offset:         36
        .size:           4
        .value_kind:     by_value
      - .offset:         40
        .size:           320
        .value_kind:     by_value
      - .offset:         360
        .size:           96
        .value_kind:     by_value
      - .offset:         456
        .size:           80
        .value_kind:     by_value
      - .offset:         536
        .size:           80
        .value_kind:     by_value
      - .offset:         616
        .size:           112
        .value_kind:     by_value
      - .offset:         728
        .size:           40
        .value_kind:     by_value
      - .offset:         768
        .size:           4
        .value_kind:     hidden_block_count_x
      - .offset:         772
        .size:           4
        .value_kind:     hidden_block_count_y
      - .offset:         776
        .size:           4
        .value_kind:     hidden_block_count_z
      - .offset:         780
        .size:           2
        .value_kind:     hidden_group_size_x
      - .offset:         782
        .size:           2
        .value_kind:     hidden_group_size_y
      - .offset:         784
        .size:           2
        .value_kind:     hidden_group_size_z
      - .offset:         786
        .size:           2
        .value_kind:     hidden_remainder_x
      - .offset:         788
        .size:           2
        .value_kind:     hidden_remainder_y
      - .offset:         790
        .size:           2
        .value_kind:     hidden_remainder_z
      - .offset:         808
        .size:           8
        .value_kind:     hidden_global_offset_x
      - .offset:         816
        .size:           8
        .value_kind:     hidden_global_offset_y
      - .offset:         824
        .size:           8
        .value_kind:     hidden_global_offset_z
      - .offset:         832
        .size:           2
        .value_kind:     hidden_grid_dims
    .group_segment_fixed_size: 32768
    .kernarg_segment_align: 8
    .kernarg_segment_size: 1024
    .language:       OpenCL C
    .language_version:
      - 2
      - 0
    .max_flat_workgroup_size: 256
    .name:           _ZN2ck16tensor_operation6device12_GLOBAL__N_137kernel_grouped_conv_fwd_dl_multiple_dINS_32GridwiseGemmDlMultipleD_km_kn_mnILi256EDF16_fNS_5TupleIJDF16_EEEDF16_NS0_12element_wise11PassThroughES8_NS7_7AddReluELNS_25InMemoryDataOperationEnumE0ENS_16TensorDescriptorINS5_IJNS_5EmbedINS5_IJiiiiiEEESD_Lb0EEENS_11PassThroughIiEENS_3PadIiiiLb0EEESI_SI_SG_SG_NSC_INS5_IJiiEEESJ_Lb0EEESK_SK_SG_NS_23Merge_v2_magic_divisionINS5_IJiiiiEEEEESN_NS_8RightPadIiiLb0EEESP_NS_7UnMergeISJ_Lb0EEESG_EEENS5_IJNS_8SequenceIJLi0EEEENST_IJLi1EEEENST_IJLi2EEEENST_IJLi3EEEENST_IJLi4EEEENST_IJLi5EEEENST_IJLi6EEEENST_IJLi7EEEENST_IJLi8EEEENST_IJLi9EEEENST_IJLi10EEEENST_IJLi11ELi13ELi15ELi17EEEENST_IJLi12ELi14ELi16ELi18EEEENST_IJLi19EEEENST_IJLi20EEEENST_IJLi22EEEENST_IJLi21EEEEEEENS5_IJNST_IJLi1ELi2ELi3ELi4ELi5EEEES10_S11_S12_S13_S14_NST_IJLi11EEEENST_IJLi12ELi13EEEENST_IJLi14ELi15EEEENST_IJLi16ELi17EEEENST_IJLi18EEEES17_S18_S1A_S19_NST_IJLi23ELi24EEEENST_IJLi25EEEEEEENST_IJLi23ELi25ELi24EEEElEENSB_INS5_IJSR_SP_SP_SR_SG_EEENS5_IJSU_SV_SW_SY_SX_EEENS5_IJNST_IJLi1ELi2EEEESX_SY_NST_IJLi5ELi6EEEES11_EEENST_IJLi5ELi7ELi6EEEElEENSB_INS5_IJSK_SP_SP_EEENS5_IJSU_SV_SW_EEENS5_IJS1P_SX_SY_EEENST_IJLi3ELi4EEEElEELi128ELi128ELi16ELi2ELi4ELi4ELi1ENST_IJLi8ELi2EEEES1Z_NST_IJLi8ELi1ELi1ELi2EEEENST_IJLi2ELi1ELi128ELi1EEEENST_IJLi1ELi2ELi0ELi3EEEES22_NST_IJLi4ELi1ELi1ELi2EEEES22_NST_IJLi1ELi1ELi1ELi2EEEES20_S21_S22_S22_S23_S22_S24_NST_IJLi0ELi1ELi2ELi3ELi4ELi5EEEELi5ELi4EEEDF16_NS5_IJPKDF16_EEEDF16_S8_S8_S9_NSB_INS5_IJSE_SG_SI_SI_SI_SG_SG_SK_SK_SK_SG_SN_SN_SP_SP_SR_SG_SG_NSQ_INS5_IJiNS_17integral_constantIiLi128EEEEEELb0EEENSF_INS2A_IiLi2EEEEEEEENS5_IJSU_SV_SW_SX_SY_SZ_S10_S11_S12_S13_S14_S15_S16_S17_S18_S19_S1A_NST_IJLi23EEEES1J_NST_IJLi24EEEEEEENS5_IJS1C_S10_S11_S12_S13_S14_S1D_S1E_S1F_S1G_S1H_S17_S18_S1A_S19_S1I_S1J_NST_IJLi26EEEENST_IJLi27ELi28EEEENST_IJLi29EEEEEEENST_IJLi26ELi27ELi28ELi29EEEElEENSB_INS5_IJSR_SP_SP_SR_SG_SG_S2D_S2F_EEENS5_IJSU_SV_SW_SY_SX_SZ_S11_S10_EEENS5_IJS1P_SX_SY_S1Q_S11_S12_NST_IJLi9ELi10EEEES1D_EEENST_IJLi8ELi9ELi10ELi11EEEElEENS5_IJNSB_INS5_IJSK_SP_SP_NSQ_INS5_IJiS2E_NS2A_IiLi64EEEEEELb0EEES2Y_EEENS5_IJSU_SV_SW_SX_SY_EEENS5_IJS1P_SX_SY_NST_IJLi5ELi6ELi7EEEENST_IJLi8ELi9ELi10EEEEEEENST_IJLi5ELi6ELi7ELi8ELi9ELi10EEEElEEEEES35_NS_31BlockToCTileMap_M00_N00_M01_N01ILi128ELi128ES1Y_Lb0EEENS1_30ComputePtrOffsetOfStridedBatchILi1ELi1ELi1EvEELb0ELb0EEEvPKT0_S3D_T1_PT2_T3_T4_T5_iT6_T7_T8_T9_T10_T11_
    .private_segment_fixed_size: 0
    .sgpr_count:     70
    .sgpr_spill_count: 0
    .symbol:         _ZN2ck16tensor_operation6device12_GLOBAL__N_137kernel_grouped_conv_fwd_dl_multiple_dINS_32GridwiseGemmDlMultipleD_km_kn_mnILi256EDF16_fNS_5TupleIJDF16_EEEDF16_NS0_12element_wise11PassThroughES8_NS7_7AddReluELNS_25InMemoryDataOperationEnumE0ENS_16TensorDescriptorINS5_IJNS_5EmbedINS5_IJiiiiiEEESD_Lb0EEENS_11PassThroughIiEENS_3PadIiiiLb0EEESI_SI_SG_SG_NSC_INS5_IJiiEEESJ_Lb0EEESK_SK_SG_NS_23Merge_v2_magic_divisionINS5_IJiiiiEEEEESN_NS_8RightPadIiiLb0EEESP_NS_7UnMergeISJ_Lb0EEESG_EEENS5_IJNS_8SequenceIJLi0EEEENST_IJLi1EEEENST_IJLi2EEEENST_IJLi3EEEENST_IJLi4EEEENST_IJLi5EEEENST_IJLi6EEEENST_IJLi7EEEENST_IJLi8EEEENST_IJLi9EEEENST_IJLi10EEEENST_IJLi11ELi13ELi15ELi17EEEENST_IJLi12ELi14ELi16ELi18EEEENST_IJLi19EEEENST_IJLi20EEEENST_IJLi22EEEENST_IJLi21EEEEEEENS5_IJNST_IJLi1ELi2ELi3ELi4ELi5EEEES10_S11_S12_S13_S14_NST_IJLi11EEEENST_IJLi12ELi13EEEENST_IJLi14ELi15EEEENST_IJLi16ELi17EEEENST_IJLi18EEEES17_S18_S1A_S19_NST_IJLi23ELi24EEEENST_IJLi25EEEEEEENST_IJLi23ELi25ELi24EEEElEENSB_INS5_IJSR_SP_SP_SR_SG_EEENS5_IJSU_SV_SW_SY_SX_EEENS5_IJNST_IJLi1ELi2EEEESX_SY_NST_IJLi5ELi6EEEES11_EEENST_IJLi5ELi7ELi6EEEElEENSB_INS5_IJSK_SP_SP_EEENS5_IJSU_SV_SW_EEENS5_IJS1P_SX_SY_EEENST_IJLi3ELi4EEEElEELi128ELi128ELi16ELi2ELi4ELi4ELi1ENST_IJLi8ELi2EEEES1Z_NST_IJLi8ELi1ELi1ELi2EEEENST_IJLi2ELi1ELi128ELi1EEEENST_IJLi1ELi2ELi0ELi3EEEES22_NST_IJLi4ELi1ELi1ELi2EEEES22_NST_IJLi1ELi1ELi1ELi2EEEES20_S21_S22_S22_S23_S22_S24_NST_IJLi0ELi1ELi2ELi3ELi4ELi5EEEELi5ELi4EEEDF16_NS5_IJPKDF16_EEEDF16_S8_S8_S9_NSB_INS5_IJSE_SG_SI_SI_SI_SG_SG_SK_SK_SK_SG_SN_SN_SP_SP_SR_SG_SG_NSQ_INS5_IJiNS_17integral_constantIiLi128EEEEEELb0EEENSF_INS2A_IiLi2EEEEEEEENS5_IJSU_SV_SW_SX_SY_SZ_S10_S11_S12_S13_S14_S15_S16_S17_S18_S19_S1A_NST_IJLi23EEEES1J_NST_IJLi24EEEEEEENS5_IJS1C_S10_S11_S12_S13_S14_S1D_S1E_S1F_S1G_S1H_S17_S18_S1A_S19_S1I_S1J_NST_IJLi26EEEENST_IJLi27ELi28EEEENST_IJLi29EEEEEEENST_IJLi26ELi27ELi28ELi29EEEElEENSB_INS5_IJSR_SP_SP_SR_SG_SG_S2D_S2F_EEENS5_IJSU_SV_SW_SY_SX_SZ_S11_S10_EEENS5_IJS1P_SX_SY_S1Q_S11_S12_NST_IJLi9ELi10EEEES1D_EEENST_IJLi8ELi9ELi10ELi11EEEElEENS5_IJNSB_INS5_IJSK_SP_SP_NSQ_INS5_IJiS2E_NS2A_IiLi64EEEEEELb0EEES2Y_EEENS5_IJSU_SV_SW_SX_SY_EEENS5_IJS1P_SX_SY_NST_IJLi5ELi6ELi7EEEENST_IJLi8ELi9ELi10EEEEEEENST_IJLi5ELi6ELi7ELi8ELi9ELi10EEEElEEEEES35_NS_31BlockToCTileMap_M00_N00_M01_N01ILi128ELi128ES1Y_Lb0EEENS1_30ComputePtrOffsetOfStridedBatchILi1ELi1ELi1EvEELb0ELb0EEEvPKT0_S3D_T1_PT2_T3_T4_T5_iT6_T7_T8_T9_T10_T11_.kd
    .uniform_work_group_size: 1
    .uses_dynamic_stack: false
    .vgpr_count:     136
    .vgpr_spill_count: 0
    .wavefront_size: 32
    .workgroup_processor_mode: 1
amdhsa.target:   amdgcn-amd-amdhsa--gfx1100
amdhsa.version:
  - 1
  - 2
...

	.end_amdgpu_metadata
